;; amdgpu-corpus repo=triton-lang/triton kind=triton arch=gfx1201 opt=O3 lang=triton
	.amdgcn_target "amdgcn-amd-amdhsa--gfx1201"
	.amdhsa_code_object_version 5
	.text
	.globl	matmul_kernel                   ; -- Begin function matmul_kernel
	.p2align	8
	.type	matmul_kernel,@function
matmul_kernel:                          ; @matmul_kernel
.Lfunc_begin0:
	.file	1 "/root/src/amdgpu-assembly/repos/triton-lang__triton-aot" "matmul.py"
	.loc	1 7 0                           ; matmul.py:7:0
	.cfi_sections .debug_frame
	.cfi_startproc
; %bb.0:
	s_load_b128 s[20:23], s[0:1], 0x18
.Ltmp0:
	.loc	1 16 22 prologue_end            ; matmul.py:16:22
	s_abs_i32 s5, ttmp9
	.loc	1 31 20                         ; matmul.py:31:20
	s_bfe_u32 s17, ttmp8, 0x50019
	s_load_b32 s40, s[0:1], 0x28
	.loc	1 22 51                         ; matmul.py:22:51
	v_and_b32_e32 v194, 31, v0
	v_mov_b32_e32 v4, 0
.Ltmp1:
	.file	2 "/root/.local/lib/python3.13/site-packages/triton/language" "standard.py"
	.loc	2 43 17                         ; standard.py:43:17 @[ matmul.py:14:27 ]
	s_wait_kmcnt 0x0
	s_add_co_i32 s2, s21, 0x7f
.Ltmp2:
	.loc	2 43 17 is_stmt 0               ; standard.py:43:17 @[ matmul.py:13:27 ]
	s_add_co_i32 s6, s20, 0x7f
.Ltmp3:
	.loc	2 43 30                         ; standard.py:43:30 @[ matmul.py:14:27 ]
	s_ashr_i32 s3, s2, 31
.Ltmp4:
	.loc	2 43 30                         ; standard.py:43:30 @[ matmul.py:13:27 ]
	s_ashr_i32 s8, s6, 31
.Ltmp5:
	.loc	2 43 30                         ; standard.py:43:30 @[ matmul.py:14:27 ]
	s_lshr_b32 s3, s3, 25
.Ltmp6:
	.loc	2 43 30                         ; standard.py:43:30 @[ matmul.py:13:27 ]
	s_lshr_b32 s8, s8, 25
.Ltmp7:
	.loc	2 43 30                         ; standard.py:43:30 @[ matmul.py:14:27 ]
	s_add_co_i32 s2, s2, s3
.Ltmp8:
	.loc	2 43 30                         ; standard.py:43:30 @[ matmul.py:13:27 ]
	s_add_co_i32 s6, s6, s8
.Ltmp9:
	.loc	2 43 30                         ; standard.py:43:30 @[ matmul.py:14:27 ]
	s_ashr_i32 s2, s2, 7
.Ltmp10:
	.loc	2 43 30                         ; standard.py:43:30 @[ matmul.py:13:27 ]
	s_ashr_i32 s6, s6, 7
.Ltmp11:
	.loc	1 15 38 is_stmt 1               ; matmul.py:15:38
	s_lshl_b32 s2, s2, 3
	s_delay_alu instid0(SALU_CYCLE_1) | instskip(NEXT) | instid1(SALU_CYCLE_1)
	.loc	1 16 22                         ; matmul.py:16:22
	s_abs_i32 s3, s2
	s_cvt_f32_u32 s4, s3
	s_sub_co_i32 s7, 0, s3
	s_delay_alu instid0(SALU_CYCLE_2) | instskip(NEXT) | instid1(TRANS32_DEP_1)
	v_rcp_iflag_f32_e32 v1, s4
	v_readfirstlane_b32 s4, v1
	s_mul_f32 s4, s4, 0x4f7ffffe
	s_wait_alu depctr_sa_sdst(0)
	s_delay_alu instid0(SALU_CYCLE_2) | instskip(SKIP_1) | instid1(SALU_CYCLE_2)
	s_cvt_u32_f32 s4, s4
	s_wait_alu depctr_sa_sdst(0)
	s_mul_i32 s7, s7, s4
	s_delay_alu instid0(SALU_CYCLE_1) | instskip(NEXT) | instid1(SALU_CYCLE_1)
	s_mul_hi_u32 s7, s4, s7
	s_add_co_i32 s4, s4, s7
	s_xor_b32 s7, ttmp9, s2
	s_wait_alu depctr_sa_sdst(0)
	s_mul_hi_u32 s4, s5, s4
	s_ashr_i32 s7, s7, 31
	s_wait_alu depctr_sa_sdst(0)
	s_mul_i32 s8, s4, s3
	s_delay_alu instid0(SALU_CYCLE_1)
	s_sub_co_i32 s5, s5, s8
	s_add_co_i32 s8, s4, 1
	s_wait_alu depctr_sa_sdst(0)
	s_sub_co_i32 s9, s5, s3
	s_cmp_ge_u32 s5, s3
	s_cselect_b32 s4, s8, s4
	s_cselect_b32 s5, s9, s5
	s_wait_alu depctr_sa_sdst(0)
	s_add_co_i32 s8, s4, 1
	s_cmp_ge_u32 s5, s3
	s_cselect_b32 s3, s8, s4
	s_delay_alu instid0(SALU_CYCLE_1) | instskip(NEXT) | instid1(SALU_CYCLE_1)
	s_xor_b32 s3, s3, s7
	s_sub_co_i32 s3, s3, s7
	s_delay_alu instid0(SALU_CYCLE_1)
	.loc	1 17 29                         ; matmul.py:17:29
	s_lshl_b32 s4, s3, 3
	.loc	1 19 34                         ; matmul.py:19:34
	s_mul_i32 s3, s3, s2
	.loc	1 18 35                         ; matmul.py:18:35
	s_wait_alu depctr_sa_sdst(0)
	s_sub_co_i32 s5, s6, s4
	.loc	1 19 34                         ; matmul.py:19:34
	s_sub_co_i32 s2, ttmp9, s3
	.loc	1 18 48                         ; matmul.py:18:48
	s_wait_alu depctr_sa_sdst(0)
	s_min_i32 s5, s5, 8
	.loc	1 20 40                         ; matmul.py:20:40
	s_wait_alu depctr_sa_sdst(0)
	s_abs_i32 s6, s5
	s_delay_alu instid0(SALU_CYCLE_1) | instskip(SKIP_1) | instid1(SALU_CYCLE_2)
	s_cvt_f32_u32 s7, s6
	s_sub_co_i32 s8, 0, s6
	v_rcp_iflag_f32_e32 v1, s7
	s_delay_alu instid0(TRANS32_DEP_1) | instskip(SKIP_2) | instid1(SALU_CYCLE_2)
	v_readfirstlane_b32 s7, v1
	s_mul_f32 s7, s7, 0x4f7ffffe
	s_wait_alu depctr_sa_sdst(0)
	s_cvt_u32_f32 s7, s7
	s_wait_alu depctr_sa_sdst(0)
	s_delay_alu instid0(SALU_CYCLE_2) | instskip(NEXT) | instid1(SALU_CYCLE_1)
	s_mul_i32 s8, s8, s7
	s_mul_hi_u32 s3, s7, s8
	s_abs_i32 s8, s2
	s_add_co_i32 s7, s7, s3
	s_wait_alu depctr_sa_sdst(0)
	s_mul_hi_u32 s3, s8, s7
	s_xor_b32 s7, s2, s5
	s_mul_i32 s9, s3, s6
	s_wait_alu depctr_sa_sdst(0)
	s_ashr_i32 s7, s7, 31
	s_sub_co_i32 s8, s8, s9
	s_add_co_i32 s9, s3, 1
	s_sub_co_i32 s10, s8, s6
	s_cmp_ge_u32 s8, s6
	s_cselect_b32 s3, s9, s3
	s_cselect_b32 s8, s10, s8
	s_add_co_i32 s9, s3, 1
	s_cmp_ge_u32 s8, s6
	s_cselect_b32 s3, s9, s3
	.loc	1 22 68                         ; matmul.py:22:68
	s_abs_i32 s18, s20
	.loc	1 20 40                         ; matmul.py:20:40
	s_wait_alu depctr_sa_sdst(0)
	s_xor_b32 s3, s3, s7
	.loc	1 22 68                         ; matmul.py:22:68
	s_cvt_f32_u32 s6, s18
	.loc	1 20 40                         ; matmul.py:20:40
	s_sub_co_i32 s30, s3, s7
	.loc	1 22 51                         ; matmul.py:22:51
	s_and_b32 s3, s17, 7
	.loc	1 19 54                         ; matmul.py:19:54
	s_mul_i32 s5, s30, s5
	.loc	1 22 68                         ; matmul.py:22:68
	s_wait_alu depctr_sa_sdst(0)
	v_rcp_iflag_f32_e32 v1, s6
	.loc	1 19 54                         ; matmul.py:19:54
	s_sub_co_i32 s2, s2, s5
	.loc	1 22 68                         ; matmul.py:22:68
	s_sub_co_i32 s5, 0, s18
	.loc	1 19 27                         ; matmul.py:19:27
	s_add_co_i32 s2, s2, s4
	s_mov_b32 s9, 0
	.loc	1 22 23                         ; matmul.py:22:23
	s_lshl_b32 s16, s2, 7
	.loc	1 22 68 is_stmt 0               ; matmul.py:22:68
	s_bfe_i32 s19, s2, 0x10018
	.loc	1 22 38                         ; matmul.py:22:38
	s_or_b32 s29, s16, s3
	.loc	1 22 68                         ; matmul.py:22:68
	s_mov_b32 s11, s9
	s_add_co_i32 s29, s29, s19
	v_readfirstlane_b32 s6, v1
	s_xor_b32 s3, s29, s19
	s_mov_b32 s7, s9
	s_mul_f32 s6, s6, 0x4f7ffffe
	s_wait_alu depctr_sa_sdst(0)
	s_delay_alu instid0(SALU_CYCLE_2) | instskip(SKIP_1) | instid1(SALU_CYCLE_2)
	s_cvt_u32_f32 s4, s6
	s_wait_alu depctr_sa_sdst(0)
	s_mul_i32 s5, s5, s4
	s_wait_alu depctr_sa_sdst(0)
	s_mul_hi_u32 s2, s4, s5
	s_delay_alu instid0(SALU_CYCLE_1) | instskip(SKIP_4) | instid1(SALU_CYCLE_1)
	s_add_co_i32 s10, s4, s2
	s_load_b64 s[4:5], s[0:1], 0x0
	s_mul_hi_u32 s2, s3, s10
	.loc	1 25 71 is_stmt 1               ; matmul.py:25:71
	v_mul_lo_u32 v1, s40, v194
	.loc	1 22 68                         ; matmul.py:22:68
	s_mul_i32 s2, s2, s18
	s_sub_co_i32 s2, s3, s2
	s_delay_alu instid0(SALU_CYCLE_1) | instskip(SKIP_2) | instid1(SALU_CYCLE_1)
	s_sub_co_i32 s3, s2, s18
	s_cmp_ge_u32 s2, s18
	s_cselect_b32 s2, s3, s2
	s_sub_co_i32 s3, s2, s18
	s_cmp_ge_u32 s2, s18
	s_cselect_b32 s2, s3, s2
	.loc	1 23 68                         ; matmul.py:23:68
	s_abs_i32 s27, s21
	.loc	1 22 68                         ; matmul.py:22:68
	s_xor_b32 s2, s2, s19
	s_add_co_i32 s3, s29, 8
	s_sub_co_i32 s2, s2, s19
	s_xor_b32 s6, s3, s19
	.loc	1 25 53                         ; matmul.py:25:53
	v_mad_co_u64_u32 v[2:3], null, s2, s23, v[1:2]
	.loc	1 23 68                         ; matmul.py:23:68
	s_cvt_f32_u32 s2, s27
	.loc	1 22 68                         ; matmul.py:22:68
	s_add_co_i32 s8, s29, 16
	s_add_co_i32 s13, s29, 24
.Ltmp12:
	.loc	2 43 17                         ; standard.py:43:17 @[ matmul.py:29:33 ]
	s_add_co_i32 s39, s22, 31
.Ltmp13:
	.loc	1 23 68                         ; matmul.py:23:68
	s_wait_alu depctr_sa_sdst(0)
	v_rcp_iflag_f32_e32 v5, s2
	.loc	1 22 68                         ; matmul.py:22:68
	s_mul_u64 s[2:3], s[6:7], s[10:11]
	.loc	1 25 22                         ; matmul.py:25:22
	v_ashrrev_i32_e32 v3, 31, v2
	.loc	1 22 68                         ; matmul.py:22:68
	s_add_co_i32 s14, s29, 32
	s_xor_b32 s12, s8, s19
	s_xor_b32 s8, s13, s19
	.loc	1 29 22                         ; matmul.py:29:22
	s_cmp_gt_i32 s39, 31
	.loc	1 25 22                         ; matmul.py:25:22
	v_lshlrev_b64_e32 v[97:98], 1, v[2:3]
	.loc	1 29 22                         ; matmul.py:29:22
	s_cselect_b32 s25, -1, 0
	.loc	1 22 68                         ; matmul.py:22:68
	s_mov_b32 s13, s9
	.loc	1 23 68                         ; matmul.py:23:68
	v_readfirstlane_b32 s24, v5
	v_mov_b32_e32 v5, 0
	.loc	1 30 51                         ; matmul.py:30:51
	v_cmp_gt_i32_e32 vcc_lo, s22, v194
	.loc	1 25 22                         ; matmul.py:25:22
	s_wait_kmcnt 0x0
	v_add_co_u32 v65, s2, s4, v97
	s_wait_alu depctr_sa_sdst(0) depctr_va_sdst(0)
	v_add_co_ci_u32_e64 v66, null, s5, v98, s2
	.loc	1 29 22                         ; matmul.py:29:22
	s_and_b32 s28, vcc_lo, s25
	s_delay_alu instid0(SALU_CYCLE_1)
	.loc	1 30 20                         ; matmul.py:30:20
	s_and_saveexec_b32 s2, s28
	s_cbranch_execz .LBB0_2
; %bb.1:
	global_load_u16 v5, v[65:66], off
.LBB0_2:
	.loc	1 0 20 is_stmt 0                ; matmul.py:0:20
	s_wait_alu depctr_sa_sdst(0)
	s_or_b32 exec_lo, exec_lo, s2
	.loc	1 22 68 is_stmt 1               ; matmul.py:22:68
	s_mul_i32 s2, s3, s18
	.loc	1 0 0 is_stmt 0                 ; matmul.py:0
	s_add_co_i32 s7, s29, 40
	.loc	1 22 68                         ; matmul.py:22:68
	s_wait_alu depctr_sa_sdst(0)
	s_sub_co_i32 s2, s6, s2
	.loc	1 0 0                           ; matmul.py:0
	s_xor_b32 s6, s14, s19
	.loc	1 22 68                         ; matmul.py:22:68
	s_wait_alu depctr_sa_sdst(0)
	s_sub_co_i32 s3, s2, s18
	s_cmp_ge_u32 s2, s18
	s_wait_alu depctr_sa_sdst(0)
	s_cselect_b32 s2, s3, s2
	s_wait_alu depctr_sa_sdst(0)
	s_sub_co_i32 s3, s2, s18
	s_cmp_ge_u32 s2, s18
	s_wait_alu depctr_sa_sdst(0)
	s_cselect_b32 s2, s3, s2
	s_wait_alu depctr_sa_sdst(0)
	s_xor_b32 s2, s2, s19
	s_wait_alu depctr_sa_sdst(0)
	s_sub_co_i32 s2, s2, s19
	.loc	1 25 53 is_stmt 1               ; matmul.py:25:53
	s_wait_alu depctr_sa_sdst(0)
	v_mad_co_u64_u32 v[2:3], null, s2, s23, v[1:2]
	.loc	1 0 0 is_stmt 0                 ; matmul.py:0
	s_mul_u64 s[2:3], s[12:13], s[10:11]
	.loc	1 25 22                         ; matmul.py:25:22
	v_ashrrev_i32_e32 v3, 31, v2
	s_delay_alu instid0(VALU_DEP_1) | instskip(NEXT) | instid1(VALU_DEP_1)
	v_lshlrev_b64_e32 v[99:100], 1, v[2:3]
	v_add_co_u32 v67, vcc_lo, s4, v99
	s_delay_alu instid0(VALU_DEP_1)
	v_add_co_ci_u32_e64 v68, null, s5, v100, vcc_lo
	.loc	1 30 20 is_stmt 1               ; matmul.py:30:20
	s_and_saveexec_b32 s2, s28
	s_cbranch_execz .LBB0_4
; %bb.3:
	global_load_u16 v4, v[67:68], off
.LBB0_4:
	.loc	1 0 20 is_stmt 0                ; matmul.py:0:20
	s_wait_alu depctr_sa_sdst(0)
	s_or_b32 exec_lo, exec_lo, s2
	.loc	1 22 68 is_stmt 1               ; matmul.py:22:68
	s_mul_i32 s2, s3, s18
	.loc	1 0 0 is_stmt 0                 ; matmul.py:0
	s_add_co_i32 s3, s29, 48
	.loc	1 22 68                         ; matmul.py:22:68
	s_wait_alu depctr_sa_sdst(0)
	s_sub_co_i32 s12, s12, s2
	.loc	1 0 0                           ; matmul.py:0
	s_xor_b32 s2, s7, s19
	.loc	1 22 68                         ; matmul.py:22:68
	s_sub_co_i32 s7, s12, s18
	s_cmp_ge_u32 s12, s18
	v_dual_mov_b32 v6, 0 :: v_dual_mov_b32 v7, 0
	s_wait_alu depctr_sa_sdst(0)
	s_cselect_b32 s7, s7, s12
	s_wait_alu depctr_sa_sdst(0)
	s_sub_co_i32 s12, s7, s18
	s_cmp_ge_u32 s7, s18
	s_cselect_b32 s7, s12, s7
	.loc	1 0 0                           ; matmul.py:0
	s_mul_u64 s[12:13], s[8:9], s[10:11]
	.loc	1 22 68                         ; matmul.py:22:68
	s_wait_alu depctr_sa_sdst(0)
	s_xor_b32 s7, s7, s19
	s_wait_alu depctr_sa_sdst(0)
	s_sub_co_i32 s7, s7, s19
	.loc	1 25 53 is_stmt 1               ; matmul.py:25:53
	s_wait_alu depctr_sa_sdst(0)
	v_mad_co_u64_u32 v[2:3], null, s7, s23, v[1:2]
	.loc	1 0 0 is_stmt 0                 ; matmul.py:0
	s_mov_b32 s7, s9
	.loc	1 25 22                         ; matmul.py:25:22
	v_ashrrev_i32_e32 v3, 31, v2
	s_delay_alu instid0(VALU_DEP_1) | instskip(NEXT) | instid1(VALU_DEP_1)
	v_lshlrev_b64_e32 v[101:102], 1, v[2:3]
	v_add_co_u32 v69, vcc_lo, s4, v101
	s_wait_alu depctr_va_vcc(0)
	s_delay_alu instid0(VALU_DEP_2)
	v_add_co_ci_u32_e64 v70, null, s5, v102, vcc_lo
	.loc	1 30 20 is_stmt 1               ; matmul.py:30:20
	s_and_saveexec_b32 s12, s28
	s_cbranch_execz .LBB0_6
; %bb.5:
	global_load_u16 v7, v[69:70], off
.LBB0_6:
	.loc	1 0 20 is_stmt 0                ; matmul.py:0:20
	s_or_b32 exec_lo, exec_lo, s12
	.loc	1 22 68 is_stmt 1               ; matmul.py:22:68
	s_mul_i32 s12, s13, s18
	.loc	1 0 0 is_stmt 0                 ; matmul.py:0
	s_add_co_i32 s15, s29, 56
	.loc	1 22 68                         ; matmul.py:22:68
	s_sub_co_i32 s8, s8, s12
	.loc	1 0 0                           ; matmul.py:0
	s_xor_b32 s14, s3, s19
	.loc	1 22 68                         ; matmul.py:22:68
	s_sub_co_i32 s3, s8, s18
	s_cmp_ge_u32 s8, s18
	.loc	1 0 0                           ; matmul.py:0
	s_wait_alu depctr_sa_sdst(0)
	s_mul_u64 s[12:13], s[6:7], s[10:11]
	.loc	1 22 68                         ; matmul.py:22:68
	s_cselect_b32 s3, s3, s8
	s_wait_alu depctr_sa_sdst(0)
	s_sub_co_i32 s8, s3, s18
	s_cmp_ge_u32 s3, s18
	s_cselect_b32 s3, s8, s3
	s_wait_alu depctr_sa_sdst(0)
	s_xor_b32 s3, s3, s19
	s_wait_alu depctr_sa_sdst(0)
	s_sub_co_i32 s3, s3, s19
	.loc	1 25 53 is_stmt 1               ; matmul.py:25:53
	s_wait_alu depctr_sa_sdst(0)
	v_mad_co_u64_u32 v[2:3], null, s3, s23, v[1:2]
	.loc	1 0 0 is_stmt 0                 ; matmul.py:0
	s_mov_b32 s3, s9
	.loc	1 25 22                         ; matmul.py:25:22
	v_ashrrev_i32_e32 v3, 31, v2
	s_delay_alu instid0(VALU_DEP_1) | instskip(NEXT) | instid1(VALU_DEP_1)
	v_lshlrev_b64_e32 v[103:104], 1, v[2:3]
	v_add_co_u32 v71, vcc_lo, s4, v103
	s_wait_alu depctr_va_vcc(0)
	s_delay_alu instid0(VALU_DEP_2)
	v_add_co_ci_u32_e64 v72, null, s5, v104, vcc_lo
	.loc	1 30 20 is_stmt 1               ; matmul.py:30:20
	s_and_saveexec_b32 s7, s28
	s_cbranch_execz .LBB0_8
; %bb.7:
	global_load_u16 v6, v[71:72], off
.LBB0_8:
	.loc	1 0 20 is_stmt 0                ; matmul.py:0:20
	s_wait_alu depctr_sa_sdst(0)
	s_or_b32 exec_lo, exec_lo, s7
	.loc	1 22 68 is_stmt 1               ; matmul.py:22:68
	s_mul_i32 s7, s13, s18
	.loc	1 0 0 is_stmt 0                 ; matmul.py:0
	s_add_co_i32 s12, s29, 64
	.loc	1 22 68                         ; matmul.py:22:68
	s_wait_alu depctr_sa_sdst(0)
	s_sub_co_i32 s6, s6, s7
	.loc	1 0 0                           ; matmul.py:0
	s_xor_b32 s8, s15, s19
	.loc	1 22 68                         ; matmul.py:22:68
	s_wait_alu depctr_sa_sdst(0)
	s_sub_co_i32 s7, s6, s18
	s_cmp_ge_u32 s6, s18
	v_dual_mov_b32 v8, 0 :: v_dual_mov_b32 v9, 0
	s_wait_alu depctr_sa_sdst(0)
	s_cselect_b32 s6, s7, s6
	.loc	1 0 0                           ; matmul.py:0
	s_mov_b32 s15, s9
	.loc	1 22 68                         ; matmul.py:22:68
	s_wait_alu depctr_sa_sdst(0)
	s_sub_co_i32 s7, s6, s18
	s_cmp_ge_u32 s6, s18
	s_wait_alu depctr_sa_sdst(0)
	s_cselect_b32 s6, s7, s6
	s_wait_alu depctr_sa_sdst(0)
	s_xor_b32 s6, s6, s19
	s_wait_alu depctr_sa_sdst(0)
	s_sub_co_i32 s6, s6, s19
	.loc	1 25 53 is_stmt 1               ; matmul.py:25:53
	s_wait_alu depctr_sa_sdst(0)
	v_mad_co_u64_u32 v[2:3], null, s6, s23, v[1:2]
	.loc	1 0 0 is_stmt 0                 ; matmul.py:0
	s_mul_u64 s[6:7], s[2:3], s[10:11]
	.loc	1 25 22                         ; matmul.py:25:22
	v_ashrrev_i32_e32 v3, 31, v2
	s_delay_alu instid0(VALU_DEP_1) | instskip(NEXT) | instid1(VALU_DEP_1)
	v_lshlrev_b64_e32 v[105:106], 1, v[2:3]
	v_add_co_u32 v73, vcc_lo, s4, v105
	s_wait_alu depctr_va_vcc(0)
	s_delay_alu instid0(VALU_DEP_2)
	v_add_co_ci_u32_e64 v74, null, s5, v106, vcc_lo
	.loc	1 30 20 is_stmt 1               ; matmul.py:30:20
	s_and_saveexec_b32 s3, s28
	s_cbranch_execz .LBB0_10
; %bb.9:
	global_load_u16 v9, v[73:74], off
.LBB0_10:
	.loc	1 0 20 is_stmt 0                ; matmul.py:0:20
	s_wait_alu depctr_sa_sdst(0)
	s_or_b32 exec_lo, exec_lo, s3
	.loc	1 22 68 is_stmt 1               ; matmul.py:22:68
	s_mul_i32 s3, s7, s18
	.loc	1 0 0 is_stmt 0                 ; matmul.py:0
	s_add_co_i32 s6, s29, 0x48
	.loc	1 22 68                         ; matmul.py:22:68
	s_wait_alu depctr_sa_sdst(0)
	s_sub_co_i32 s2, s2, s3
	.loc	1 0 0                           ; matmul.py:0
	s_xor_b32 s12, s12, s19
	.loc	1 22 68                         ; matmul.py:22:68
	s_wait_alu depctr_sa_sdst(0)
	s_sub_co_i32 s3, s2, s18
	s_cmp_ge_u32 s2, s18
	s_wait_alu depctr_sa_sdst(0)
	s_cselect_b32 s2, s3, s2
	s_wait_alu depctr_sa_sdst(0)
	s_sub_co_i32 s3, s2, s18
	s_cmp_ge_u32 s2, s18
	s_wait_alu depctr_sa_sdst(0)
	s_cselect_b32 s2, s3, s2
	s_wait_alu depctr_sa_sdst(0)
	s_xor_b32 s2, s2, s19
	s_wait_alu depctr_sa_sdst(0)
	s_sub_co_i32 s2, s2, s19
	.loc	1 25 53 is_stmt 1               ; matmul.py:25:53
	s_wait_alu depctr_sa_sdst(0)
	v_mad_co_u64_u32 v[2:3], null, s2, s23, v[1:2]
	.loc	1 0 0 is_stmt 0                 ; matmul.py:0
	s_mul_u64 s[2:3], s[14:15], s[10:11]
	.loc	1 25 22                         ; matmul.py:25:22
	v_ashrrev_i32_e32 v3, 31, v2
	s_delay_alu instid0(VALU_DEP_1) | instskip(NEXT) | instid1(VALU_DEP_1)
	v_lshlrev_b64_e32 v[107:108], 1, v[2:3]
	v_add_co_u32 v75, vcc_lo, s4, v107
	s_wait_alu depctr_va_vcc(0)
	s_delay_alu instid0(VALU_DEP_2)
	v_add_co_ci_u32_e64 v76, null, s5, v108, vcc_lo
	.loc	1 30 20 is_stmt 1               ; matmul.py:30:20
	s_and_saveexec_b32 s2, s28
	s_cbranch_execz .LBB0_12
; %bb.11:
	global_load_u16 v8, v[75:76], off
.LBB0_12:
	.loc	1 0 20 is_stmt 0                ; matmul.py:0:20
	s_wait_alu depctr_sa_sdst(0)
	s_or_b32 exec_lo, exec_lo, s2
	.loc	1 22 68 is_stmt 1               ; matmul.py:22:68
	s_mul_i32 s2, s3, s18
	.loc	1 0 0 is_stmt 0                 ; matmul.py:0
	s_add_co_i32 s7, s29, 0x50
	.loc	1 22 68                         ; matmul.py:22:68
	s_wait_alu depctr_sa_sdst(0)
	s_sub_co_i32 s2, s14, s2
	.loc	1 0 0                           ; matmul.py:0
	s_xor_b32 s6, s6, s19
	.loc	1 22 68                         ; matmul.py:22:68
	s_wait_alu depctr_sa_sdst(0)
	s_sub_co_i32 s3, s2, s18
	s_cmp_ge_u32 s2, s18
	v_dual_mov_b32 v10, 0 :: v_dual_mov_b32 v11, 0
	s_wait_alu depctr_sa_sdst(0)
	s_cselect_b32 s2, s3, s2
	.loc	1 0 0                           ; matmul.py:0
	s_mov_b32 s13, s9
	.loc	1 22 68                         ; matmul.py:22:68
	s_wait_alu depctr_sa_sdst(0)
	s_sub_co_i32 s3, s2, s18
	s_cmp_ge_u32 s2, s18
	s_wait_alu depctr_sa_sdst(0)
	s_cselect_b32 s2, s3, s2
	s_wait_alu depctr_sa_sdst(0)
	s_xor_b32 s2, s2, s19
	s_wait_alu depctr_sa_sdst(0)
	s_sub_co_i32 s2, s2, s19
	.loc	1 25 53 is_stmt 1               ; matmul.py:25:53
	s_wait_alu depctr_sa_sdst(0)
	v_mad_co_u64_u32 v[2:3], null, s2, s23, v[1:2]
	.loc	1 0 0 is_stmt 0                 ; matmul.py:0
	s_mul_u64 s[2:3], s[8:9], s[10:11]
	.loc	1 25 22                         ; matmul.py:25:22
	v_ashrrev_i32_e32 v3, 31, v2
	s_delay_alu instid0(VALU_DEP_1) | instskip(NEXT) | instid1(VALU_DEP_1)
	v_lshlrev_b64_e32 v[109:110], 1, v[2:3]
	v_add_co_u32 v77, vcc_lo, s4, v109
	s_wait_alu depctr_va_vcc(0)
	s_delay_alu instid0(VALU_DEP_2)
	v_add_co_ci_u32_e64 v78, null, s5, v110, vcc_lo
	.loc	1 30 20 is_stmt 1               ; matmul.py:30:20
	s_and_saveexec_b32 s2, s28
	s_cbranch_execz .LBB0_14
; %bb.13:
	global_load_u16 v11, v[77:78], off
.LBB0_14:
	.loc	1 0 20 is_stmt 0                ; matmul.py:0:20
	s_wait_alu depctr_sa_sdst(0)
	s_or_b32 exec_lo, exec_lo, s2
	.loc	1 22 68 is_stmt 1               ; matmul.py:22:68
	s_mul_i32 s2, s3, s18
	.loc	1 0 0 is_stmt 0                 ; matmul.py:0
	s_add_co_i32 s3, s29, 0x58
	.loc	1 22 68                         ; matmul.py:22:68
	s_wait_alu depctr_sa_sdst(0)
	s_sub_co_i32 s8, s8, s2
	.loc	1 0 0                           ; matmul.py:0
	s_xor_b32 s2, s7, s19
	.loc	1 22 68                         ; matmul.py:22:68
	s_sub_co_i32 s7, s8, s18
	s_cmp_ge_u32 s8, s18
	.loc	1 0 0                           ; matmul.py:0
	s_mul_u64 s[14:15], s[12:13], s[10:11]
	.loc	1 22 68                         ; matmul.py:22:68
	s_wait_alu depctr_sa_sdst(0)
	s_cselect_b32 s7, s7, s8
	s_wait_alu depctr_sa_sdst(0)
	s_sub_co_i32 s8, s7, s18
	s_cmp_ge_u32 s7, s18
	s_cselect_b32 s7, s8, s7
	s_wait_alu depctr_sa_sdst(0)
	s_xor_b32 s7, s7, s19
	s_wait_alu depctr_sa_sdst(0)
	s_sub_co_i32 s7, s7, s19
	.loc	1 25 53 is_stmt 1               ; matmul.py:25:53
	s_wait_alu depctr_sa_sdst(0)
	v_mad_co_u64_u32 v[2:3], null, s7, s23, v[1:2]
	.loc	1 0 0 is_stmt 0                 ; matmul.py:0
	s_mov_b32 s7, s9
	.loc	1 25 22                         ; matmul.py:25:22
	v_ashrrev_i32_e32 v3, 31, v2
	s_delay_alu instid0(VALU_DEP_1) | instskip(NEXT) | instid1(VALU_DEP_1)
	v_lshlrev_b64_e32 v[111:112], 1, v[2:3]
	v_add_co_u32 v79, vcc_lo, s4, v111
	s_wait_alu depctr_va_vcc(0)
	s_delay_alu instid0(VALU_DEP_2)
	v_add_co_ci_u32_e64 v80, null, s5, v112, vcc_lo
	.loc	1 30 20 is_stmt 1               ; matmul.py:30:20
	s_and_saveexec_b32 s8, s28
	s_cbranch_execz .LBB0_16
; %bb.15:
	global_load_u16 v10, v[79:80], off
.LBB0_16:
	.loc	1 0 20 is_stmt 0                ; matmul.py:0:20
	s_or_b32 exec_lo, exec_lo, s8
	.loc	1 22 68 is_stmt 1               ; matmul.py:22:68
	s_mul_i32 s8, s15, s18
	s_lshl_b32 s26, s17, 5
	s_sub_co_i32 s12, s12, s8
	.loc	1 0 0 is_stmt 0                 ; matmul.py:0
	s_add_co_i32 s14, s29, 0x60
	s_xor_b32 s8, s3, s19
	.loc	1 22 68                         ; matmul.py:22:68
	s_sub_co_i32 s3, s12, s18
	s_cmp_ge_u32 s12, s18
	v_dual_mov_b32 v12, 0 :: v_dual_mov_b32 v13, 0
	s_wait_alu depctr_sa_sdst(0)
	s_cselect_b32 s3, s3, s12
	s_mul_f32 s31, s24, 0x4f7ffffe
	s_wait_alu depctr_sa_sdst(0)
	s_sub_co_i32 s12, s3, s18
	s_cmp_ge_u32 s3, s18
	s_cselect_b32 s3, s12, s3
	.loc	1 0 0                           ; matmul.py:0
	s_mul_u64 s[12:13], s[6:7], s[10:11]
	.loc	1 22 68                         ; matmul.py:22:68
	s_wait_alu depctr_sa_sdst(0)
	s_xor_b32 s3, s3, s19
	s_wait_alu depctr_sa_sdst(0)
	s_sub_co_i32 s3, s3, s19
	.loc	1 25 53 is_stmt 1               ; matmul.py:25:53
	s_wait_alu depctr_sa_sdst(0)
	v_mad_co_u64_u32 v[2:3], null, s3, s23, v[1:2]
	.loc	1 0 0 is_stmt 0                 ; matmul.py:0
	s_mov_b32 s3, s9
	.loc	1 25 22                         ; matmul.py:25:22
	v_ashrrev_i32_e32 v3, 31, v2
	s_delay_alu instid0(VALU_DEP_1) | instskip(NEXT) | instid1(VALU_DEP_1)
	v_lshlrev_b64_e32 v[113:114], 1, v[2:3]
	v_add_co_u32 v81, vcc_lo, s4, v113
	s_wait_alu depctr_va_vcc(0)
	s_delay_alu instid0(VALU_DEP_2)
	v_add_co_ci_u32_e64 v82, null, s5, v114, vcc_lo
	.loc	1 30 20 is_stmt 1               ; matmul.py:30:20
	s_and_saveexec_b32 s7, s28
	s_cbranch_execz .LBB0_18
; %bb.17:
	global_load_u16 v13, v[81:82], off
.LBB0_18:
	.loc	1 0 20 is_stmt 0                ; matmul.py:0:20
	s_wait_alu depctr_sa_sdst(0)
	s_or_b32 exec_lo, exec_lo, s7
	.loc	1 22 68 is_stmt 1               ; matmul.py:22:68
	s_mul_i32 s12, s13, s18
	s_lshl_b32 s24, s30, 7
	s_sub_co_i32 s12, s6, s12
	s_sub_co_i32 s7, 0, s27
	.loc	1 0 0 is_stmt 0                 ; matmul.py:0
	s_add_co_i32 s15, s29, 0x68
	s_xor_b32 s6, s14, s19
	.loc	1 22 68                         ; matmul.py:22:68
	s_sub_co_i32 s13, s12, s18
	s_cmp_ge_u32 s12, s18
	v_or_b32_e32 v193, s26, v194
	s_cselect_b32 s12, s13, s12
	s_cvt_u32_f32 s31, s31
	s_sub_co_i32 s13, s12, s18
	s_cmp_ge_u32 s12, s18
	s_cselect_b32 s12, s13, s12
	s_delay_alu instid0(SALU_CYCLE_1) | instskip(NEXT) | instid1(SALU_CYCLE_1)
	s_xor_b32 s12, s12, s19
	s_sub_co_i32 s12, s12, s19
	s_delay_alu instid0(SALU_CYCLE_1) | instskip(SKIP_2) | instid1(VALU_DEP_1)
	.loc	1 25 53 is_stmt 1               ; matmul.py:25:53
	v_mad_co_u64_u32 v[2:3], null, s12, s23, v[1:2]
	.loc	1 0 0 is_stmt 0                 ; matmul.py:0
	s_mul_u64 s[12:13], s[2:3], s[10:11]
	.loc	1 25 22                         ; matmul.py:25:22
	v_ashrrev_i32_e32 v3, 31, v2
	v_lshlrev_b64_e32 v[115:116], 1, v[2:3]
	s_delay_alu instid0(VALU_DEP_1) | instskip(SKIP_1) | instid1(VALU_DEP_2)
	v_add_co_u32 v83, vcc_lo, s4, v115
	s_wait_alu depctr_va_vcc(0)
	v_add_co_ci_u32_e64 v84, null, s5, v116, vcc_lo
	.loc	1 30 20 is_stmt 1               ; matmul.py:30:20
	s_and_saveexec_b32 s3, s28
	s_cbranch_execz .LBB0_20
; %bb.19:
	global_load_u16 v12, v[83:84], off
.LBB0_20:
	.loc	1 0 20 is_stmt 0                ; matmul.py:0:20
	s_wait_alu depctr_sa_sdst(0)
	s_or_b32 exec_lo, exec_lo, s3
	.loc	1 22 68 is_stmt 1               ; matmul.py:22:68
	s_mul_i32 s12, s13, s18
	s_bfe_i32 s30, s30, 0x10018
	s_wait_alu depctr_sa_sdst(0)
	s_sub_co_i32 s12, s2, s12
	.loc	1 0 0 is_stmt 0                 ; matmul.py:0
	s_add_co_i32 s3, s29, 0x70
	s_xor_b32 s2, s15, s19
	.loc	1 22 68                         ; matmul.py:22:68
	s_wait_alu depctr_sa_sdst(0)
	s_sub_co_i32 s13, s12, s18
	s_cmp_ge_u32 s12, s18
	v_dual_mov_b32 v14, 0 :: v_dual_mov_b32 v15, 0
	s_wait_alu depctr_sa_sdst(0)
	s_cselect_b32 s12, s13, s12
	s_mul_i32 s33, s7, s31
	s_wait_alu depctr_sa_sdst(0)
	s_sub_co_i32 s13, s12, s18
	s_cmp_ge_u32 s12, s18
	.loc	1 0 0                           ; matmul.py:0
	s_mov_b32 s7, s9
	.loc	1 22 68                         ; matmul.py:22:68
	s_wait_alu depctr_sa_sdst(0)
	s_cselect_b32 s12, s13, s12
	s_wait_alu depctr_sa_sdst(0)
	s_xor_b32 s12, s12, s19
	s_wait_alu depctr_sa_sdst(0)
	s_sub_co_i32 s12, s12, s19
	.loc	1 25 53 is_stmt 1               ; matmul.py:25:53
	s_wait_alu depctr_sa_sdst(0)
	v_mad_co_u64_u32 v[2:3], null, s12, s23, v[1:2]
	.loc	1 0 0 is_stmt 0                 ; matmul.py:0
	s_mul_u64 s[12:13], s[8:9], s[10:11]
	.loc	1 25 22                         ; matmul.py:25:22
	v_ashrrev_i32_e32 v3, 31, v2
	s_delay_alu instid0(VALU_DEP_1) | instskip(SKIP_1) | instid1(VALU_DEP_2)
	v_lshlrev_b64_e32 v[117:118], 1, v[2:3]
	v_and_or_b32 v2, 0x7f, v193, s24
	v_add_co_u32 v85, vcc_lo, s4, v117
	s_wait_alu depctr_va_vcc(0)
	s_delay_alu instid0(VALU_DEP_3)
	v_add_co_ci_u32_e64 v86, null, s5, v118, vcc_lo
	.loc	1 30 20 is_stmt 1               ; matmul.py:30:20
	s_and_saveexec_b32 s12, s28
	s_cbranch_execz .LBB0_22
; %bb.21:
	global_load_u16 v15, v[85:86], off
.LBB0_22:
	.loc	1 0 20 is_stmt 0                ; matmul.py:0:20
	s_wait_alu depctr_sa_sdst(0)
	s_or_b32 exec_lo, exec_lo, s12
	.loc	1 22 68 is_stmt 1               ; matmul.py:22:68
	s_mul_i32 s12, s13, s18
	.loc	1 0 0 is_stmt 0                 ; matmul.py:0
	s_addk_co_i32 s29, 0x78
	.loc	1 22 68                         ; matmul.py:22:68
	s_wait_alu depctr_sa_sdst(0)
	s_sub_co_i32 s8, s8, s12
	.loc	1 0 0                           ; matmul.py:0
	s_xor_b32 s12, s3, s19
	.loc	1 22 68                         ; matmul.py:22:68
	s_sub_co_i32 s3, s8, s18
	s_cmp_ge_u32 s8, s18
	.loc	1 0 0                           ; matmul.py:0
	s_mul_u64 s[14:15], s[6:7], s[10:11]
	.loc	1 22 68                         ; matmul.py:22:68
	s_wait_alu depctr_sa_sdst(0)
	s_cselect_b32 s3, s3, s8
	.loc	1 0 0                           ; matmul.py:0
	s_mul_hi_u32 s7, s31, s33
	.loc	1 22 68                         ; matmul.py:22:68
	s_wait_alu depctr_sa_sdst(0)
	s_sub_co_i32 s8, s3, s18
	s_cmp_ge_u32 s3, s18
	s_cselect_b32 s3, s8, s3
	s_wait_alu depctr_sa_sdst(0)
	s_xor_b32 s3, s3, s19
	s_wait_alu depctr_sa_sdst(0)
	s_sub_co_i32 s3, s3, s19
	.loc	1 25 53 is_stmt 1               ; matmul.py:25:53
	s_wait_alu depctr_sa_sdst(0)
	v_mad_co_u64_u32 v[16:17], null, s3, s23, v[1:2]
	.loc	1 0 0 is_stmt 0                 ; matmul.py:0
	v_add_nc_u32_e32 v2, s30, v2
	s_mov_b32 s3, s9
	s_delay_alu instid0(VALU_DEP_2) | instskip(NEXT) | instid1(VALU_DEP_1)
	.loc	1 25 22                         ; matmul.py:25:22
	v_ashrrev_i32_e32 v17, 31, v16
	v_lshlrev_b64_e32 v[119:120], 1, v[16:17]
	s_delay_alu instid0(VALU_DEP_1) | instskip(SKIP_1) | instid1(VALU_DEP_2)
	v_add_co_u32 v87, vcc_lo, s4, v119
	s_wait_alu depctr_va_vcc(0)
	v_add_co_ci_u32_e64 v88, null, s5, v120, vcc_lo
	.loc	1 30 20 is_stmt 1               ; matmul.py:30:20
	s_and_saveexec_b32 s8, s28
	s_cbranch_execz .LBB0_24
; %bb.23:
	global_load_u16 v14, v[87:88], off
.LBB0_24:
	.loc	1 0 20 is_stmt 0                ; matmul.py:0:20
	s_or_b32 exec_lo, exec_lo, s8
	.loc	1 22 68 is_stmt 1               ; matmul.py:22:68
	s_mul_i32 s8, s15, s18
	.loc	1 0 0 is_stmt 0                 ; matmul.py:0
	s_add_co_i32 s31, s31, s7
	.loc	1 22 68                         ; matmul.py:22:68
	s_sub_co_i32 s6, s6, s8
	.loc	1 0 0                           ; matmul.py:0
	s_xor_b32 s8, s29, s19
	.loc	1 22 68                         ; matmul.py:22:68
	s_wait_alu depctr_sa_sdst(0)
	s_sub_co_i32 s7, s6, s18
	s_cmp_ge_u32 s6, s18
	.loc	1 0 0                           ; matmul.py:0
	v_xor_b32_e32 v20, s30, v2
	.loc	1 22 68                         ; matmul.py:22:68
	s_wait_alu depctr_sa_sdst(0)
	s_cselect_b32 s6, s7, s6
	.loc	1 0 0                           ; matmul.py:0
	s_mov_b32 s13, s9
	.loc	1 22 68                         ; matmul.py:22:68
	s_wait_alu depctr_sa_sdst(0)
	s_sub_co_i32 s7, s6, s18
	s_cmp_ge_u32 s6, s18
	s_wait_alu depctr_sa_sdst(0)
	s_cselect_b32 s6, s7, s6
	s_wait_alu depctr_sa_sdst(0)
	s_xor_b32 s6, s6, s19
	s_wait_alu depctr_sa_sdst(0)
	s_sub_co_i32 s6, s6, s19
	.loc	1 25 53 is_stmt 1               ; matmul.py:25:53
	s_wait_alu depctr_sa_sdst(0)
	v_mad_co_u64_u32 v[16:17], null, s6, s23, v[1:2]
	.loc	1 0 0 is_stmt 0                 ; matmul.py:0
	s_mul_u64 s[6:7], s[2:3], s[10:11]
	.loc	1 25 22                         ; matmul.py:25:22
	v_ashrrev_i32_e32 v17, 31, v16
	s_delay_alu instid0(VALU_DEP_1) | instskip(SKIP_1) | instid1(VALU_DEP_2)
	v_lshlrev_b64_e32 v[121:122], 1, v[16:17]
	v_dual_mov_b32 v16, 0 :: v_dual_mov_b32 v17, 0
	v_add_co_u32 v89, vcc_lo, s4, v121
	s_wait_alu depctr_va_vcc(0)
	s_delay_alu instid0(VALU_DEP_3)
	v_add_co_ci_u32_e64 v90, null, s5, v122, vcc_lo
	.loc	1 30 20 is_stmt 1               ; matmul.py:30:20
	s_and_saveexec_b32 s3, s28
	s_cbranch_execz .LBB0_26
; %bb.25:
	global_load_u16 v17, v[89:90], off
.LBB0_26:
	.loc	1 0 20 is_stmt 0                ; matmul.py:0:20
	s_wait_alu depctr_sa_sdst(0)
	s_or_b32 exec_lo, exec_lo, s3
	.loc	1 22 68 is_stmt 1               ; matmul.py:22:68
	s_mul_i32 s3, s7, s18
	s_wait_alu depctr_sa_sdst(0)
	s_sub_co_i32 s2, s2, s3
	s_wait_alu depctr_sa_sdst(0)
	s_sub_co_i32 s3, s2, s18
	s_cmp_ge_u32 s2, s18
	s_wait_alu depctr_sa_sdst(0)
	s_cselect_b32 s2, s3, s2
	s_wait_alu depctr_sa_sdst(0)
	s_sub_co_i32 s3, s2, s18
	s_cmp_ge_u32 s2, s18
	s_wait_alu depctr_sa_sdst(0)
	s_cselect_b32 s2, s3, s2
	s_wait_alu depctr_sa_sdst(0)
	s_xor_b32 s2, s2, s19
	s_wait_alu depctr_sa_sdst(0)
	s_sub_co_i32 s2, s2, s19
	.loc	1 25 53                         ; matmul.py:25:53
	s_wait_alu depctr_sa_sdst(0)
	v_mad_co_u64_u32 v[2:3], null, s2, s23, v[1:2]
	.loc	1 0 0 is_stmt 0                 ; matmul.py:0
	s_mul_u64 s[2:3], s[12:13], s[10:11]
	.loc	1 25 22                         ; matmul.py:25:22
	v_ashrrev_i32_e32 v3, 31, v2
	s_delay_alu instid0(VALU_DEP_1) | instskip(SKIP_1) | instid1(VALU_DEP_2)
	v_lshlrev_b64_e32 v[123:124], 1, v[2:3]
	.loc	1 0 0                           ; matmul.py:0
	v_mad_co_u64_u32 v[2:3], null, v20, s31, 0
	.loc	1 25 22                         ; matmul.py:25:22
	v_add_co_u32 v91, vcc_lo, s4, v123
	s_wait_alu depctr_va_vcc(0)
	s_delay_alu instid0(VALU_DEP_3)
	v_add_co_ci_u32_e64 v92, null, s5, v124, vcc_lo
	.loc	1 30 20 is_stmt 1               ; matmul.py:30:20
	s_and_saveexec_b32 s2, s28
	s_cbranch_execz .LBB0_28
; %bb.27:
	global_load_u16 v16, v[91:92], off
.LBB0_28:
	.loc	1 0 20 is_stmt 0                ; matmul.py:0:20
	s_wait_alu depctr_sa_sdst(0)
	s_or_b32 exec_lo, exec_lo, s2
	.loc	1 22 68 is_stmt 1               ; matmul.py:22:68
	s_mul_i32 s2, s3, s18
	s_load_b64 s[6:7], s[0:1], 0x8
	s_sub_co_i32 s2, s12, s2
	s_wait_alu depctr_sa_sdst(0)
	s_sub_co_i32 s3, s2, s18
	s_cmp_ge_u32 s2, s18
	s_wait_alu depctr_sa_sdst(0)
	s_cselect_b32 s2, s3, s2
	s_wait_alu depctr_sa_sdst(0)
	s_sub_co_i32 s3, s2, s18
	s_cmp_ge_u32 s2, s18
	s_wait_alu depctr_sa_sdst(0)
	s_cselect_b32 s2, s3, s2
	s_wait_alu depctr_sa_sdst(0)
	s_xor_b32 s2, s2, s19
	s_wait_alu depctr_sa_sdst(0)
	s_sub_co_i32 s2, s2, s19
	.loc	1 25 53                         ; matmul.py:25:53
	s_wait_alu depctr_sa_sdst(0)
	v_mad_co_u64_u32 v[18:19], null, s2, s23, v[1:2]
	.loc	1 0 0 is_stmt 0                 ; matmul.py:0
	s_mul_u64 s[2:3], s[8:9], s[10:11]
	.loc	1 25 22                         ; matmul.py:25:22
	v_ashrrev_i32_e32 v19, 31, v18
	s_delay_alu instid0(VALU_DEP_1) | instskip(SKIP_1) | instid1(VALU_DEP_2)
	v_lshlrev_b64_e32 v[125:126], 1, v[18:19]
	v_dual_mov_b32 v18, 0 :: v_dual_mov_b32 v19, 0
	v_add_co_u32 v93, vcc_lo, s4, v125
	s_wait_alu depctr_va_vcc(0)
	s_delay_alu instid0(VALU_DEP_3)
	v_add_co_ci_u32_e64 v94, null, s5, v126, vcc_lo
	.loc	1 30 20 is_stmt 1               ; matmul.py:30:20
	s_and_saveexec_b32 s2, s28
	s_cbranch_execz .LBB0_30
; %bb.29:
	global_load_u16 v19, v[93:94], off
.LBB0_30:
	.loc	1 0 20 is_stmt 0                ; matmul.py:0:20
	s_wait_alu depctr_sa_sdst(0)
	s_or_b32 exec_lo, exec_lo, s2
	.loc	1 22 68 is_stmt 1               ; matmul.py:22:68
	s_mul_i32 s2, s3, s18
	s_wait_alu depctr_sa_sdst(0)
	s_sub_co_i32 s2, s8, s2
	s_load_b64 s[8:9], s[0:1], 0x2c
	s_sub_co_i32 s3, s2, s18
	s_cmp_ge_u32 s2, s18
	s_wait_alu depctr_sa_sdst(0)
	s_cselect_b32 s2, s3, s2
	s_wait_alu depctr_sa_sdst(0)
	s_sub_co_i32 s3, s2, s18
	s_cmp_ge_u32 s2, s18
	s_wait_alu depctr_sa_sdst(0)
	s_cselect_b32 s2, s3, s2
	s_wait_alu depctr_sa_sdst(0)
	s_xor_b32 s2, s2, s19
	s_wait_alu depctr_sa_sdst(0)
	s_sub_co_i32 s2, s2, s19
	.loc	1 25 53                         ; matmul.py:25:53
	s_wait_alu depctr_sa_sdst(0)
	v_mad_co_u64_u32 v[1:2], null, s2, s23, v[1:2]
	s_delay_alu instid0(VALU_DEP_1) | instskip(NEXT) | instid1(VALU_DEP_1)
	.loc	1 25 22 is_stmt 0               ; matmul.py:25:22
	v_ashrrev_i32_e32 v2, 31, v1
	v_lshlrev_b64_e32 v[127:128], 1, v[1:2]
	s_delay_alu instid0(VALU_DEP_1) | instskip(SKIP_1) | instid1(VALU_DEP_2)
	v_add_co_u32 v161, vcc_lo, s4, v127
	s_wait_alu depctr_va_vcc(0)
	v_add_co_ci_u32_e64 v162, null, s5, v128, vcc_lo
	.loc	1 30 20 is_stmt 1               ; matmul.py:30:20
	s_and_saveexec_b32 s2, s28
	s_cbranch_execz .LBB0_32
; %bb.31:
	global_load_u16 v18, v[161:162], off
.LBB0_32:
	.loc	1 0 20 is_stmt 0                ; matmul.py:0:20
	s_wait_alu depctr_sa_sdst(0)
	s_or_b32 exec_lo, exec_lo, s2
	.loc	1 23 68 is_stmt 1               ; matmul.py:23:68
	v_mul_lo_u32 v1, v3, s27
	.loc	1 26 29                         ; matmul.py:26:29
	s_bfe_u32 s12, s17, 0x10002
	v_mov_b32_e32 v3, 0
	.loc	1 26 40 is_stmt 0               ; matmul.py:26:40
	s_wait_kmcnt 0x0
	s_wait_alu depctr_sa_sdst(0)
	s_mul_i32 s2, s8, s12
	.loc	1 31 51 is_stmt 1               ; matmul.py:31:51
	s_cmp_ge_i32 s12, s22
	s_delay_alu instid0(VALU_DEP_2) | instskip(NEXT) | instid1(VALU_DEP_1)
	.loc	1 23 68                         ; matmul.py:23:68
	v_sub_nc_u32_e32 v1, v20, v1
	v_subrev_nc_u32_e32 v2, s27, v1
	v_cmp_le_u32_e32 vcc_lo, s27, v1
	s_wait_alu depctr_va_vcc(0)
	s_delay_alu instid0(VALU_DEP_2) | instskip(NEXT) | instid1(VALU_DEP_1)
	v_cndmask_b32_e32 v1, v1, v2, vcc_lo
	v_subrev_nc_u32_e32 v2, s27, v1
	v_cmp_le_u32_e32 vcc_lo, s27, v1
	s_wait_alu depctr_va_vcc(0)
	s_delay_alu instid0(VALU_DEP_2) | instskip(NEXT) | instid1(VALU_DEP_1)
	v_cndmask_b32_e32 v1, v1, v2, vcc_lo
	v_xor_b32_e32 v1, s30, v1
	s_delay_alu instid0(VALU_DEP_1) | instskip(SKIP_1) | instid1(VALU_DEP_1)
	v_subrev_nc_u32_e32 v1, s30, v1
	.loc	1 26 52                         ; matmul.py:26:52
	s_wait_alu depctr_sa_sdst(0)
	v_mad_co_u64_u32 v[1:2], null, v1, s9, s[2:3]
	.loc	1 31 51                         ; matmul.py:31:51
	s_cselect_b32 s2, -1, 0
	.loc	1 29 22                         ; matmul.py:29:22
	s_xor_b32 s3, s25, -1
	.loc	1 31 20                         ; matmul.py:31:20
	s_wait_alu depctr_sa_sdst(0)
	s_or_b32 s2, s2, s3
	s_wait_alu depctr_sa_sdst(0)
	s_and_b32 vcc_lo, exec_lo, s2
	.loc	1 26 22                         ; matmul.py:26:22
	v_ashrrev_i32_e32 v2, 31, v1
	s_delay_alu instid0(VALU_DEP_1) | instskip(SKIP_1) | instid1(VALU_DEP_2)
	v_lshlrev_b64_e32 v[129:130], 1, v[1:2]
	v_mov_b32_e32 v2, 0
	v_add_co_u32 v95, s2, s6, v129
	s_wait_alu depctr_va_sdst(0)
	s_delay_alu instid0(VALU_DEP_3)
	v_add_co_ci_u32_e64 v96, null, s7, v130, s2
	.loc	1 31 20                         ; matmul.py:31:20
	s_wait_alu depctr_sa_sdst(0)
	s_cbranch_vccnz .LBB0_34
; %bb.33:
	global_load_u16 v3, v[95:96], off
.LBB0_34:
	.loc	1 26 52                         ; matmul.py:26:52
	v_lshl_add_u32 v20, s8, 1, v1
	.loc	1 26 29 is_stmt 0               ; matmul.py:26:29
	s_or_b32 s13, s12, 2
	.loc	1 31 51 is_stmt 1               ; matmul.py:31:51
	s_wait_alu depctr_sa_sdst(0)
	s_cmp_ge_i32 s13, s22
	s_cselect_b32 s2, -1, 0
	.loc	1 26 22                         ; matmul.py:26:22
	v_ashrrev_i32_e32 v21, 31, v20
	.loc	1 31 20                         ; matmul.py:31:20
	s_wait_alu depctr_sa_sdst(0)
	s_or_b32 s2, s2, s3
	s_delay_alu instid0(VALU_DEP_1) | instskip(NEXT) | instid1(VALU_DEP_1)
	.loc	1 26 22                         ; matmul.py:26:22
	v_lshlrev_b64_e32 v[131:132], 1, v[20:21]
	v_add_co_u32 v163, vcc_lo, s6, v131
	s_wait_alu depctr_va_vcc(0)
	s_delay_alu instid0(VALU_DEP_2)
	v_add_co_ci_u32_e64 v164, null, s7, v132, vcc_lo
	.loc	1 31 20                         ; matmul.py:31:20
	s_wait_alu depctr_sa_sdst(0)
	s_and_b32 vcc_lo, exec_lo, s2
	s_wait_alu depctr_sa_sdst(0)
	s_cbranch_vccnz .LBB0_36
; %bb.35:
	global_load_u16 v2, v[163:164], off
.LBB0_36:
	.loc	1 26 52                         ; matmul.py:26:52
	v_lshl_add_u32 v20, s8, 2, v1
	.loc	1 26 29 is_stmt 0               ; matmul.py:26:29
	s_or_b32 s14, s12, 4
	s_delay_alu instid0(SALU_CYCLE_1) | instskip(SKIP_1) | instid1(VALU_DEP_1)
	.loc	1 31 51 is_stmt 1               ; matmul.py:31:51
	s_cmp_ge_i32 s14, s22
	s_cselect_b32 s2, -1, 0
	.loc	1 26 22                         ; matmul.py:26:22
	v_ashrrev_i32_e32 v21, 31, v20
	.loc	1 31 20                         ; matmul.py:31:20
	s_wait_alu depctr_sa_sdst(0)
	s_or_b32 s2, s2, s3
	s_wait_alu depctr_sa_sdst(0)
	s_and_b32 vcc_lo, exec_lo, s2
	.loc	1 26 22                         ; matmul.py:26:22
	v_lshlrev_b64_e32 v[133:134], 1, v[20:21]
	v_dual_mov_b32 v20, 0 :: v_dual_mov_b32 v21, 0
	s_delay_alu instid0(VALU_DEP_2) | instskip(SKIP_1) | instid1(VALU_DEP_3)
	v_add_co_u32 v165, s2, s6, v133
	s_wait_alu depctr_va_sdst(0)
	v_add_co_ci_u32_e64 v166, null, s7, v134, s2
	.loc	1 31 20                         ; matmul.py:31:20
	s_wait_alu depctr_sa_sdst(0)
	s_cbranch_vccnz .LBB0_38
; %bb.37:
	global_load_u16 v21, v[165:166], off
.LBB0_38:
	.loc	1 26 52                         ; matmul.py:26:52
	s_wait_loadcnt 0x0
	v_mad_co_u64_u32 v[22:23], null, s8, 6, v[1:2]
	.loc	1 26 29 is_stmt 0               ; matmul.py:26:29
	s_or_b32 s15, s12, 6
	s_delay_alu instid0(SALU_CYCLE_1) | instskip(SKIP_4) | instid1(VALU_DEP_1)
	.loc	1 31 51 is_stmt 1               ; matmul.py:31:51
	s_cmp_ge_i32 s15, s22
	s_cselect_b32 s2, -1, 0
	.loc	1 31 20 is_stmt 0               ; matmul.py:31:20
	s_wait_alu depctr_sa_sdst(0)
	s_or_b32 s2, s2, s3
	.loc	1 26 22 is_stmt 1               ; matmul.py:26:22
	v_ashrrev_i32_e32 v23, 31, v22
	v_lshlrev_b64_e32 v[135:136], 1, v[22:23]
	s_delay_alu instid0(VALU_DEP_1) | instskip(SKIP_1) | instid1(VALU_DEP_2)
	v_add_co_u32 v167, vcc_lo, s6, v135
	s_wait_alu depctr_va_vcc(0)
	v_add_co_ci_u32_e64 v168, null, s7, v136, vcc_lo
	.loc	1 31 20                         ; matmul.py:31:20
	s_wait_alu depctr_sa_sdst(0)
	s_and_b32 vcc_lo, exec_lo, s2
	s_wait_alu depctr_sa_sdst(0)
	s_cbranch_vccnz .LBB0_40
; %bb.39:
	global_load_u16 v20, v[167:168], off
.LBB0_40:
	.loc	1 26 52                         ; matmul.py:26:52
	v_lshl_add_u32 v22, s8, 3, v1
	.loc	1 26 29 is_stmt 0               ; matmul.py:26:29
	s_or_b32 s23, s12, 8
	.loc	1 31 51 is_stmt 1               ; matmul.py:31:51
	s_wait_alu depctr_sa_sdst(0)
	s_cmp_ge_i32 s23, s22
	s_cselect_b32 s2, -1, 0
	.loc	1 26 22                         ; matmul.py:26:22
	v_ashrrev_i32_e32 v23, 31, v22
	.loc	1 31 20                         ; matmul.py:31:20
	s_wait_alu depctr_sa_sdst(0)
	s_or_b32 s2, s2, s3
	s_wait_alu depctr_sa_sdst(0)
	s_and_b32 vcc_lo, exec_lo, s2
	.loc	1 26 22                         ; matmul.py:26:22
	v_lshlrev_b64_e32 v[137:138], 1, v[22:23]
	v_dual_mov_b32 v22, 0 :: v_dual_mov_b32 v23, 0
	s_delay_alu instid0(VALU_DEP_2) | instskip(SKIP_1) | instid1(VALU_DEP_3)
	v_add_co_u32 v169, s2, s6, v137
	s_wait_alu depctr_va_sdst(0)
	v_add_co_ci_u32_e64 v170, null, s7, v138, s2
	.loc	1 31 20                         ; matmul.py:31:20
	s_wait_alu depctr_sa_sdst(0)
	s_cbranch_vccnz .LBB0_42
; %bb.41:
	global_load_u16 v23, v[169:170], off
.LBB0_42:
	.loc	1 26 52                         ; matmul.py:26:52
	v_mad_co_u64_u32 v[24:25], null, s8, 10, v[1:2]
	.loc	1 26 29 is_stmt 0               ; matmul.py:26:29
	s_or_b32 s27, s12, 10
	.loc	1 31 51 is_stmt 1               ; matmul.py:31:51
	s_wait_alu depctr_sa_sdst(0)
	s_cmp_ge_i32 s27, s22
	s_cselect_b32 s2, -1, 0
	.loc	1 31 20 is_stmt 0               ; matmul.py:31:20
	s_wait_alu depctr_sa_sdst(0)
	s_or_b32 s2, s2, s3
	.loc	1 26 22 is_stmt 1               ; matmul.py:26:22
	v_ashrrev_i32_e32 v25, 31, v24
	s_delay_alu instid0(VALU_DEP_1) | instskip(NEXT) | instid1(VALU_DEP_1)
	v_lshlrev_b64_e32 v[139:140], 1, v[24:25]
	v_add_co_u32 v171, vcc_lo, s6, v139
	s_wait_alu depctr_va_vcc(0)
	s_delay_alu instid0(VALU_DEP_2)
	v_add_co_ci_u32_e64 v172, null, s7, v140, vcc_lo
	.loc	1 31 20                         ; matmul.py:31:20
	s_wait_alu depctr_sa_sdst(0)
	s_and_b32 vcc_lo, exec_lo, s2
	s_wait_alu depctr_sa_sdst(0)
	s_cbranch_vccnz .LBB0_44
; %bb.43:
	global_load_u16 v22, v[171:172], off
.LBB0_44:
	.loc	1 26 52                         ; matmul.py:26:52
	v_mad_co_u64_u32 v[24:25], null, s8, 12, v[1:2]
	.loc	1 26 29 is_stmt 0               ; matmul.py:26:29
	s_or_b32 s28, s12, 12
	s_delay_alu instid0(SALU_CYCLE_1)
	.loc	1 31 51 is_stmt 1               ; matmul.py:31:51
	s_cmp_ge_i32 s28, s22
	s_cselect_b32 s2, -1, 0
	.loc	1 31 20 is_stmt 0               ; matmul.py:31:20
	s_wait_alu depctr_sa_sdst(0)
	s_or_b32 s2, s2, s3
	.loc	1 26 22 is_stmt 1               ; matmul.py:26:22
	v_ashrrev_i32_e32 v25, 31, v24
	.loc	1 31 20                         ; matmul.py:31:20
	s_wait_alu depctr_sa_sdst(0)
	s_and_b32 vcc_lo, exec_lo, s2
	s_delay_alu instid0(VALU_DEP_1) | instskip(SKIP_1) | instid1(VALU_DEP_2)
	.loc	1 26 22                         ; matmul.py:26:22
	v_lshlrev_b64_e32 v[141:142], 1, v[24:25]
	v_dual_mov_b32 v24, 0 :: v_dual_mov_b32 v25, 0
	v_add_co_u32 v173, s2, s6, v141
	s_wait_alu depctr_va_sdst(0)
	s_delay_alu instid0(VALU_DEP_3)
	v_add_co_ci_u32_e64 v174, null, s7, v142, s2
	.loc	1 31 20                         ; matmul.py:31:20
	s_wait_alu depctr_sa_sdst(0)
	s_cbranch_vccnz .LBB0_46
; %bb.45:
	global_load_u16 v25, v[173:174], off
.LBB0_46:
	.loc	1 26 52                         ; matmul.py:26:52
	v_mad_co_u64_u32 v[26:27], null, s8, 14, v[1:2]
	.loc	1 26 29 is_stmt 0               ; matmul.py:26:29
	s_or_b32 s29, s12, 14
	s_delay_alu instid0(SALU_CYCLE_1) | instskip(SKIP_4) | instid1(VALU_DEP_1)
	.loc	1 31 51 is_stmt 1               ; matmul.py:31:51
	s_cmp_ge_i32 s29, s22
	s_cselect_b32 s2, -1, 0
	.loc	1 31 20 is_stmt 0               ; matmul.py:31:20
	s_wait_alu depctr_sa_sdst(0)
	s_or_b32 s2, s2, s3
	.loc	1 26 22 is_stmt 1               ; matmul.py:26:22
	v_ashrrev_i32_e32 v27, 31, v26
	v_lshlrev_b64_e32 v[143:144], 1, v[26:27]
	s_delay_alu instid0(VALU_DEP_1) | instskip(SKIP_1) | instid1(VALU_DEP_2)
	v_add_co_u32 v175, vcc_lo, s6, v143
	s_wait_alu depctr_va_vcc(0)
	v_add_co_ci_u32_e64 v176, null, s7, v144, vcc_lo
	.loc	1 31 20                         ; matmul.py:31:20
	s_wait_alu depctr_sa_sdst(0)
	s_and_b32 vcc_lo, exec_lo, s2
	s_wait_alu depctr_sa_sdst(0)
	s_cbranch_vccnz .LBB0_48
; %bb.47:
	global_load_u16 v24, v[175:176], off
.LBB0_48:
	.loc	1 26 52                         ; matmul.py:26:52
	v_lshl_add_u32 v26, s8, 4, v1
	.loc	1 26 29 is_stmt 0               ; matmul.py:26:29
	s_or_b32 s30, s12, 16
	v_dual_mov_b32 v198, 0 :: v_dual_mov_b32 v199, 0
	.loc	1 31 51 is_stmt 1               ; matmul.py:31:51
	s_wait_alu depctr_sa_sdst(0)
	s_cmp_ge_i32 s30, s22
	.loc	1 26 22                         ; matmul.py:26:22
	v_ashrrev_i32_e32 v27, 31, v26
	.loc	1 31 51                         ; matmul.py:31:51
	s_cselect_b32 s2, -1, 0
	.loc	1 31 20 is_stmt 0               ; matmul.py:31:20
	s_wait_alu depctr_sa_sdst(0)
	s_or_b32 s2, s2, s3
	s_wait_alu depctr_sa_sdst(0)
	s_and_b32 vcc_lo, exec_lo, s2
	.loc	1 26 22 is_stmt 1               ; matmul.py:26:22
	v_lshlrev_b64_e32 v[145:146], 1, v[26:27]
	s_delay_alu instid0(VALU_DEP_1) | instskip(SKIP_1) | instid1(VALU_DEP_2)
	v_add_co_u32 v177, s2, s6, v145
	s_wait_alu depctr_va_sdst(0)
	v_add_co_ci_u32_e64 v178, null, s7, v146, s2
	.loc	1 31 20                         ; matmul.py:31:20
	s_wait_alu depctr_sa_sdst(0)
	s_cbranch_vccnz .LBB0_50
; %bb.49:
	global_load_u16 v199, v[177:178], off
.LBB0_50:
	.loc	1 26 52                         ; matmul.py:26:52
	v_mad_co_u64_u32 v[26:27], null, s8, 18, v[1:2]
	.loc	1 26 29 is_stmt 0               ; matmul.py:26:29
	s_or_b32 s31, s12, 18
	.loc	1 31 51 is_stmt 1               ; matmul.py:31:51
	s_wait_alu depctr_sa_sdst(0)
	s_cmp_ge_i32 s31, s22
	s_cselect_b32 s2, -1, 0
	.loc	1 31 20 is_stmt 0               ; matmul.py:31:20
	s_wait_alu depctr_sa_sdst(0)
	s_or_b32 s2, s2, s3
	.loc	1 26 22 is_stmt 1               ; matmul.py:26:22
	v_ashrrev_i32_e32 v27, 31, v26
	s_delay_alu instid0(VALU_DEP_1) | instskip(NEXT) | instid1(VALU_DEP_1)
	v_lshlrev_b64_e32 v[147:148], 1, v[26:27]
	v_add_co_u32 v179, vcc_lo, s6, v147
	s_wait_alu depctr_va_vcc(0)
	s_delay_alu instid0(VALU_DEP_2)
	v_add_co_ci_u32_e64 v180, null, s7, v148, vcc_lo
	.loc	1 31 20                         ; matmul.py:31:20
	s_wait_alu depctr_sa_sdst(0)
	s_and_b32 vcc_lo, exec_lo, s2
	s_wait_alu depctr_sa_sdst(0)
	s_cbranch_vccnz .LBB0_52
; %bb.51:
	global_load_u16 v198, v[179:180], off
.LBB0_52:
	.loc	1 26 52                         ; matmul.py:26:52
	v_mad_co_u64_u32 v[26:27], null, s8, 20, v[1:2]
	.loc	1 26 29 is_stmt 0               ; matmul.py:26:29
	s_or_b32 s33, s12, 20
	v_dual_mov_b32 v200, 0 :: v_dual_mov_b32 v201, 0
	.loc	1 31 51 is_stmt 1               ; matmul.py:31:51
	s_cmp_ge_i32 s33, s22
	s_cselect_b32 s2, -1, 0
	.loc	1 26 22                         ; matmul.py:26:22
	v_ashrrev_i32_e32 v27, 31, v26
	.loc	1 31 20                         ; matmul.py:31:20
	s_wait_alu depctr_sa_sdst(0)
	s_or_b32 s2, s2, s3
	s_wait_alu depctr_sa_sdst(0)
	s_and_b32 vcc_lo, exec_lo, s2
	.loc	1 26 22                         ; matmul.py:26:22
	v_lshlrev_b64_e32 v[149:150], 1, v[26:27]
	s_delay_alu instid0(VALU_DEP_1) | instskip(SKIP_1) | instid1(VALU_DEP_2)
	v_add_co_u32 v181, s2, s6, v149
	s_wait_alu depctr_va_sdst(0)
	v_add_co_ci_u32_e64 v182, null, s7, v150, s2
	.loc	1 31 20                         ; matmul.py:31:20
	s_wait_alu depctr_sa_sdst(0)
	s_cbranch_vccnz .LBB0_54
; %bb.53:
	global_load_u16 v201, v[181:182], off
.LBB0_54:
	.loc	1 26 52                         ; matmul.py:26:52
	v_mad_co_u64_u32 v[26:27], null, s8, 22, v[1:2]
	.loc	1 26 29 is_stmt 0               ; matmul.py:26:29
	s_or_b32 s34, s12, 22
	s_delay_alu instid0(SALU_CYCLE_1) | instskip(SKIP_4) | instid1(VALU_DEP_1)
	.loc	1 31 51 is_stmt 1               ; matmul.py:31:51
	s_cmp_ge_i32 s34, s22
	s_cselect_b32 s2, -1, 0
	.loc	1 31 20 is_stmt 0               ; matmul.py:31:20
	s_wait_alu depctr_sa_sdst(0)
	s_or_b32 s2, s2, s3
	.loc	1 26 22 is_stmt 1               ; matmul.py:26:22
	v_ashrrev_i32_e32 v27, 31, v26
	v_lshlrev_b64_e32 v[151:152], 1, v[26:27]
	s_delay_alu instid0(VALU_DEP_1) | instskip(SKIP_1) | instid1(VALU_DEP_2)
	v_add_co_u32 v183, vcc_lo, s6, v151
	s_wait_alu depctr_va_vcc(0)
	v_add_co_ci_u32_e64 v184, null, s7, v152, vcc_lo
	.loc	1 31 20                         ; matmul.py:31:20
	s_wait_alu depctr_sa_sdst(0)
	s_and_b32 vcc_lo, exec_lo, s2
	s_wait_alu depctr_sa_sdst(0)
	s_cbranch_vccnz .LBB0_56
; %bb.55:
	global_load_u16 v200, v[183:184], off
.LBB0_56:
	.loc	1 26 52                         ; matmul.py:26:52
	v_mad_co_u64_u32 v[26:27], null, s8, 24, v[1:2]
	.loc	1 26 29 is_stmt 0               ; matmul.py:26:29
	s_or_b32 s35, s12, 24
	v_dual_mov_b32 v202, 0 :: v_dual_mov_b32 v203, 0
	.loc	1 31 51 is_stmt 1               ; matmul.py:31:51
	s_cmp_ge_i32 s35, s22
	s_cselect_b32 s2, -1, 0
	.loc	1 26 22                         ; matmul.py:26:22
	v_ashrrev_i32_e32 v27, 31, v26
	.loc	1 31 20                         ; matmul.py:31:20
	s_wait_alu depctr_sa_sdst(0)
	s_or_b32 s2, s2, s3
	s_wait_alu depctr_sa_sdst(0)
	s_and_b32 vcc_lo, exec_lo, s2
	.loc	1 26 22                         ; matmul.py:26:22
	v_lshlrev_b64_e32 v[153:154], 1, v[26:27]
	s_delay_alu instid0(VALU_DEP_1) | instskip(SKIP_1) | instid1(VALU_DEP_2)
	v_add_co_u32 v185, s2, s6, v153
	s_wait_alu depctr_va_sdst(0)
	v_add_co_ci_u32_e64 v186, null, s7, v154, s2
	.loc	1 31 20                         ; matmul.py:31:20
	s_wait_alu depctr_sa_sdst(0)
	s_cbranch_vccnz .LBB0_58
; %bb.57:
	global_load_u16 v203, v[185:186], off
.LBB0_58:
	.loc	1 26 52                         ; matmul.py:26:52
	v_mad_co_u64_u32 v[26:27], null, s8, 26, v[1:2]
	.loc	1 26 29 is_stmt 0               ; matmul.py:26:29
	s_or_b32 s36, s12, 26
	s_delay_alu instid0(SALU_CYCLE_1) | instskip(SKIP_4) | instid1(VALU_DEP_1)
	.loc	1 31 51 is_stmt 1               ; matmul.py:31:51
	s_cmp_ge_i32 s36, s22
	s_cselect_b32 s2, -1, 0
	.loc	1 31 20 is_stmt 0               ; matmul.py:31:20
	s_wait_alu depctr_sa_sdst(0)
	s_or_b32 s2, s2, s3
	.loc	1 26 22 is_stmt 1               ; matmul.py:26:22
	v_ashrrev_i32_e32 v27, 31, v26
	v_lshlrev_b64_e32 v[155:156], 1, v[26:27]
	s_delay_alu instid0(VALU_DEP_1) | instskip(SKIP_1) | instid1(VALU_DEP_2)
	v_add_co_u32 v187, vcc_lo, s6, v155
	s_wait_alu depctr_va_vcc(0)
	;; [unrolled: 53-line block ×3, first 2 shown]
	v_add_co_ci_u32_e64 v192, null, s7, v160, vcc_lo
	.loc	1 31 20                         ; matmul.py:31:20
	s_wait_alu depctr_sa_sdst(0)
	s_and_b32 vcc_lo, exec_lo, s2
	s_wait_alu depctr_sa_sdst(0)
	s_cbranch_vccnz .LBB0_64
; %bb.63:
	global_load_u16 v204, v[191:192], off
.LBB0_64:
	.loc	1 30 20                         ; matmul.py:30:20
	v_lshlrev_b32_e32 v1, 1, v193
	s_load_b64 s[18:19], s[0:1], 0x10
	s_lshr_b32 s2, s26, 2
	.loc	1 22 51                         ; matmul.py:22:51
	v_and_b32_e32 v195, 15, v0
	.loc	1 30 20                         ; matmul.py:30:20
	s_wait_alu depctr_sa_sdst(0)
	s_and_b32 s2, s2, 48
	v_and_b32_e32 v1, 0x1fe, v1
	v_mov_b32_e32 v31, 0
	v_dual_mov_b32 v29, 0 :: v_dual_mov_b32 v40, 0
	v_dual_mov_b32 v27, 0 :: v_dual_mov_b32 v38, 0
	s_wait_alu depctr_sa_sdst(0)
	v_xor_b32_e32 v26, s2, v1
	.loc	1 31 20                         ; matmul.py:31:20
	v_add_nc_u32_e32 v197, 0, v1
	v_mov_b32_e32 v1, 0
	v_dual_mov_b32 v39, 0 :: v_dual_mov_b32 v34, 0
	s_delay_alu instid0(VALU_DEP_4)
	.loc	1 30 20                         ; matmul.py:30:20
	v_add_nc_u32_e32 v196, 0, v26
	v_dual_mov_b32 v26, 0 :: v_dual_mov_b32 v37, 0
	v_mov_b32_e32 v48, 0
	ds_store_b16 v196, v5
	ds_store_b16 v196, v4 offset:512
	ds_store_b16 v196, v7 offset:1024
	;; [unrolled: 1-line block ×15, first 2 shown]
	.loc	1 31 20                         ; matmul.py:31:20
	ds_store_b16 v197, v3 offset:8192
	ds_store_b16 v197, v2 offset:8704
	;; [unrolled: 1-line block ×3, first 2 shown]
	s_wait_loadcnt 0x0
	ds_store_b16 v197, v20 offset:9728
	ds_store_b16 v197, v23 offset:10240
	;; [unrolled: 1-line block ×5, first 2 shown]
	v_dual_mov_b32 v8, 0 :: v_dual_mov_b32 v7, 0
	v_dual_mov_b32 v6, 0 :: v_dual_mov_b32 v5, 0
	v_mov_b32_e32 v16, 0
	v_dual_mov_b32 v4, 0 :: v_dual_mov_b32 v3, 0
	v_mov_b32_e32 v14, 0
	v_dual_mov_b32 v2, 0 :: v_dual_mov_b32 v15, 0
	v_dual_mov_b32 v10, 0 :: v_dual_mov_b32 v13, 0
	v_mov_b32_e32 v24, 0
	v_dual_mov_b32 v12, 0 :: v_dual_mov_b32 v11, 0
	v_dual_mov_b32 v22, 0 :: v_dual_mov_b32 v9, 0
	;; [unrolled: 1-line block ×19, first 2 shown]
	v_mov_b32_e32 v59, 0
	v_mov_b32_e32 v57, 0
	.loc	1 29 22                         ; matmul.py:29:22
	s_cmp_lt_i32 s39, 64
	.loc	1 31 20                         ; matmul.py:31:20
	ds_store_b16 v197, v199 offset:12288
	ds_store_b16 v197, v198 offset:12800
	;; [unrolled: 1-line block ×8, first 2 shown]
	.loc	1 29 22                         ; matmul.py:29:22
	s_cbranch_scc1 .LBB0_181
; %bb.65:                               ; %.lr.ph
	.loc	1 30 55                         ; matmul.py:30:55
	s_sub_co_i32 s9, s22, 32
	v_dual_mov_b32 v198, 0 :: v_dual_mov_b32 v199, 0
	.loc	1 30 51 is_stmt 0               ; matmul.py:30:51
	s_wait_alu depctr_sa_sdst(0)
	v_cmp_gt_u32_e32 vcc_lo, s9, v194
	.loc	1 33 33 is_stmt 1               ; matmul.py:33:33
	s_lshl_b32 s10, s40, 5
	s_delay_alu instid0(SALU_CYCLE_1)
	s_ashr_i32 s11, s10, 31
	.loc	1 30 20                         ; matmul.py:30:20
	s_and_saveexec_b32 s3, vcc_lo
	s_cbranch_execz .LBB0_67
; %bb.66:
	.loc	1 33 18                         ; matmul.py:33:18
	s_lshl_b64 s[40:41], s[10:11], 1
	s_wait_alu depctr_sa_sdst(0)
	v_add_co_u32 v1, s2, v65, s40
	s_wait_alu depctr_va_sdst(0)
	v_add_co_ci_u32_e64 v2, null, s41, v66, s2
	.loc	1 30 20                         ; matmul.py:30:20
	global_load_u16 v199, v[1:2], off
.LBB0_67:
	.loc	1 0 20 is_stmt 0                ; matmul.py:0:20
	s_wait_alu depctr_sa_sdst(0)
	s_or_b32 exec_lo, exec_lo, s3
	.loc	1 30 20                         ; matmul.py:30:20
	s_and_saveexec_b32 s3, vcc_lo
	s_cbranch_execz .LBB0_69
; %bb.68:
	.loc	1 33 18 is_stmt 1               ; matmul.py:33:18
	s_lshl_b64 s[40:41], s[10:11], 1
	s_wait_alu depctr_sa_sdst(0)
	v_add_co_u32 v1, s2, v67, s40
	s_wait_alu depctr_va_sdst(0)
	v_add_co_ci_u32_e64 v2, null, s41, v68, s2
	.loc	1 30 20                         ; matmul.py:30:20
	global_load_u16 v198, v[1:2], off
.LBB0_69:
	.loc	1 0 20 is_stmt 0                ; matmul.py:0:20
	s_wait_alu depctr_sa_sdst(0)
	s_or_b32 exec_lo, exec_lo, s3
	v_dual_mov_b32 v200, 0 :: v_dual_mov_b32 v201, 0
	.loc	1 30 20                         ; matmul.py:30:20
	s_and_saveexec_b32 s3, vcc_lo
	s_cbranch_execz .LBB0_71
; %bb.70:
	.loc	1 33 18 is_stmt 1               ; matmul.py:33:18
	s_lshl_b64 s[40:41], s[10:11], 1
	s_wait_alu depctr_sa_sdst(0)
	v_add_co_u32 v1, s2, v69, s40
	s_wait_alu depctr_va_sdst(0)
	v_add_co_ci_u32_e64 v2, null, s41, v70, s2
	.loc	1 30 20                         ; matmul.py:30:20
	global_load_u16 v201, v[1:2], off
.LBB0_71:
	.loc	1 0 20 is_stmt 0                ; matmul.py:0:20
	s_wait_alu depctr_sa_sdst(0)
	s_or_b32 exec_lo, exec_lo, s3
	.loc	1 30 20                         ; matmul.py:30:20
	s_and_saveexec_b32 s3, vcc_lo
	s_cbranch_execz .LBB0_73
; %bb.72:
	.loc	1 33 18 is_stmt 1               ; matmul.py:33:18
	s_lshl_b64 s[40:41], s[10:11], 1
	s_wait_alu depctr_sa_sdst(0)
	v_add_co_u32 v1, s2, v71, s40
	s_wait_alu depctr_va_sdst(0)
	v_add_co_ci_u32_e64 v2, null, s41, v72, s2
	.loc	1 30 20                         ; matmul.py:30:20
	global_load_u16 v200, v[1:2], off
.LBB0_73:
	.loc	1 0 20 is_stmt 0                ; matmul.py:0:20
	s_wait_alu depctr_sa_sdst(0)
	s_or_b32 exec_lo, exec_lo, s3
	v_dual_mov_b32 v202, 0 :: v_dual_mov_b32 v203, 0
	.loc	1 30 20                         ; matmul.py:30:20
	s_and_saveexec_b32 s3, vcc_lo
	s_cbranch_execz .LBB0_75
; %bb.74:
	.loc	1 33 18 is_stmt 1               ; matmul.py:33:18
	s_lshl_b64 s[40:41], s[10:11], 1
	s_wait_alu depctr_sa_sdst(0)
	v_add_co_u32 v1, s2, v73, s40
	s_wait_alu depctr_va_sdst(0)
	v_add_co_ci_u32_e64 v2, null, s41, v74, s2
	.loc	1 30 20                         ; matmul.py:30:20
	global_load_u16 v203, v[1:2], off
.LBB0_75:
	;; [unrolled: 33-line block ×7, first 2 shown]
	.loc	1 0 20 is_stmt 0                ; matmul.py:0:20
	s_wait_alu depctr_sa_sdst(0)
	s_or_b32 exec_lo, exec_lo, s3
	.loc	1 30 20                         ; matmul.py:30:20
	s_and_saveexec_b32 s2, vcc_lo
	s_cbranch_execz .LBB0_97
; %bb.96:
	.loc	1 33 18 is_stmt 1               ; matmul.py:33:18
	s_lshl_b64 s[40:41], s[10:11], 1
	s_wait_alu depctr_sa_sdst(0)
	v_add_co_u32 v1, vcc_lo, v161, s40
	s_wait_alu depctr_va_vcc(0)
	v_add_co_ci_u32_e64 v2, null, s41, v162, vcc_lo
	.loc	1 30 20                         ; matmul.py:30:20
	global_load_u16 v87, v[1:2], off
.LBB0_97:
	.loc	1 0 20 is_stmt 0                ; matmul.py:0:20
	s_wait_alu depctr_sa_sdst(0)
	s_or_b32 exec_lo, exec_lo, s2
	v_dual_mov_b32 v90, 0 :: v_dual_lshlrev_b32 v1, 6, v195
	v_dual_mov_b32 v89, 0 :: v_dual_lshlrev_b32 v2, 3, v193
	.loc	1 30 20                         ; matmul.py:30:20
	s_wait_loadcnt_dscnt 0x0
	s_barrier_signal -1
	v_and_b32_e32 v9, 16, v0
	s_delay_alu instid0(VALU_DEP_2)
	v_and_or_b32 v1, 0x430, v2, v1
	.loc	1 34 33 is_stmt 1               ; matmul.py:34:33
	s_lshl_b32 s2, s8, 5
	s_wait_alu depctr_sa_sdst(0)
	s_ashr_i32 s3, s2, 31
	.loc	1 31 51                         ; matmul.py:31:51
	s_cmp_ge_u32 s12, s9
	v_xor_b32_e32 v1, v1, v9
	s_delay_alu instid0(VALU_DEP_1) | instskip(SKIP_2) | instid1(VALU_DEP_2)
	v_xor_b32_e32 v2, 32, v1
	.loc	1 30 20                         ; matmul.py:30:20
	v_add_nc_u32_e32 v161, 0, v1
	s_barrier_wait -1
	v_add_nc_u32_e32 v162, 0, v2
	global_inv scope:SCOPE_SE
	ds_load_b128 v[17:20], v161
	ds_load_b128 v[5:8], v161 offset:2048
	ds_load_b128 v[1:4], v161 offset:4096
	;; [unrolled: 1-line block ×3, first 2 shown]
	ds_load_b128 v[65:68], v162
	ds_load_b128 v[69:72], v162 offset:2048
	ds_load_b128 v[73:76], v162 offset:4096
	ds_load_b128 v[77:80], v162 offset:6144
	.loc	1 31 20                         ; matmul.py:31:20
	s_cbranch_scc0 .LBB0_312
; %bb.98:
	.loc	1 31 51 is_stmt 0               ; matmul.py:31:51
	s_cmp_ge_u32 s13, s9
	.loc	1 31 20                         ; matmul.py:31:20
	s_cbranch_scc0 .LBB0_313
.LBB0_99:
	.loc	1 0 20                          ; matmul.py:0:20
	v_dual_mov_b32 v91, 0 :: v_dual_mov_b32 v92, 0
	.loc	1 31 51                         ; matmul.py:31:51
	s_cmp_ge_u32 s14, s9
	.loc	1 31 20                         ; matmul.py:31:20
	s_cbranch_scc0 .LBB0_314
.LBB0_100:
	.loc	1 31 51                         ; matmul.py:31:51
	s_cmp_ge_u32 s15, s9
	.loc	1 31 20                         ; matmul.py:31:20
	s_cbranch_scc0 .LBB0_315
.LBB0_101:
	.loc	1 0 20                          ; matmul.py:0:20
	v_dual_mov_b32 v93, 0 :: v_dual_mov_b32 v94, 0
	.loc	1 31 51                         ; matmul.py:31:51
	s_cmp_ge_u32 s23, s9
	.loc	1 31 20                         ; matmul.py:31:20
	s_cbranch_scc0 .LBB0_316
.LBB0_102:
	.loc	1 31 51                         ; matmul.py:31:51
	s_cmp_ge_u32 s27, s9
	.loc	1 31 20                         ; matmul.py:31:20
	s_cbranch_scc0 .LBB0_317
.LBB0_103:
	.loc	1 0 20                          ; matmul.py:0:20
	v_dual_mov_b32 v95, 0 :: v_dual_mov_b32 v96, 0
	.loc	1 31 51                         ; matmul.py:31:51
	s_cmp_ge_u32 s28, s9
	.loc	1 31 20                         ; matmul.py:31:20
	s_cbranch_scc0 .LBB0_318
.LBB0_104:
	.loc	1 31 51                         ; matmul.py:31:51
	s_cmp_ge_u32 s29, s9
	.loc	1 31 20                         ; matmul.py:31:20
	s_cbranch_scc0 .LBB0_319
.LBB0_105:
	.loc	1 0 20                          ; matmul.py:0:20
	v_dual_mov_b32 v164, 0 :: v_dual_mov_b32 v165, 0
	.loc	1 31 51                         ; matmul.py:31:51
	s_cmp_ge_u32 s30, s9
	.loc	1 31 20                         ; matmul.py:31:20
	s_cbranch_scc0 .LBB0_320
.LBB0_106:
	.loc	1 31 51                         ; matmul.py:31:51
	s_cmp_ge_u32 s31, s9
	.loc	1 31 20                         ; matmul.py:31:20
	s_cbranch_scc0 .LBB0_321
.LBB0_107:
	.loc	1 0 20                          ; matmul.py:0:20
	v_dual_mov_b32 v166, 0 :: v_dual_mov_b32 v167, 0
	.loc	1 31 51                         ; matmul.py:31:51
	s_cmp_ge_u32 s33, s9
	.loc	1 31 20                         ; matmul.py:31:20
	s_cbranch_scc0 .LBB0_322
.LBB0_108:
	.loc	1 31 51                         ; matmul.py:31:51
	s_cmp_ge_u32 s34, s9
	.loc	1 31 20                         ; matmul.py:31:20
	s_cbranch_scc0 .LBB0_323
.LBB0_109:
	.loc	1 0 20                          ; matmul.py:0:20
	v_dual_mov_b32 v168, 0 :: v_dual_mov_b32 v169, 0
	.loc	1 31 51                         ; matmul.py:31:51
	s_cmp_ge_u32 s35, s9
	.loc	1 31 20                         ; matmul.py:31:20
	s_cbranch_scc0 .LBB0_324
.LBB0_110:
	.loc	1 31 51                         ; matmul.py:31:51
	s_cmp_ge_u32 s36, s9
	.loc	1 31 20                         ; matmul.py:31:20
	s_cbranch_scc0 .LBB0_325
.LBB0_111:
	.loc	1 0 20                          ; matmul.py:0:20
	v_dual_mov_b32 v170, 0 :: v_dual_mov_b32 v171, 0
	.loc	1 31 51                         ; matmul.py:31:51
	s_cmp_ge_u32 s37, s9
	.loc	1 31 20                         ; matmul.py:31:20
	s_cbranch_scc0 .LBB0_326
.LBB0_112:
	.loc	1 31 51                         ; matmul.py:31:51
	s_cmp_ge_u32 s38, s9
	.loc	1 31 20                         ; matmul.py:31:20
	s_cbranch_scc1 .LBB0_114
.LBB0_113:
	.loc	1 34 18 is_stmt 1               ; matmul.py:34:18
	s_wait_alu depctr_sa_sdst(0)
	s_lshl_b64 s[8:9], s[2:3], 1
	s_wait_alu depctr_sa_sdst(0)
	v_add_co_u32 v10, vcc_lo, v191, s8
	s_wait_alu depctr_va_vcc(0)
	v_add_co_ci_u32_e64 v11, null, s9, v192, vcc_lo
	.loc	1 31 20                         ; matmul.py:31:20
	global_load_u16 v170, v[10:11], off
.LBB0_114:
	v_lshl_add_u32 v9, v9, 7, 0
	s_and_b32 s8, s26, 0x60
	s_delay_alu instid0(VALU_DEP_1) | instskip(SKIP_1) | instid1(VALU_DEP_1)
	v_lshl_add_u32 v9, v195, 1, v9
	s_wait_alu depctr_sa_sdst(0)
	v_add_nc_u32_e32 v163, s8, v9
.Ltmp14:
	.loc	2 43 30                         ; standard.py:43:30 @[ matmul.py:29:33 ]
	s_ashr_i32 s8, s39, 31
.Ltmp15:
	.loc	1 31 20                         ; matmul.py:31:20
	ds_load_u16 v22, v163 offset:8704
	ds_load_u16 v21, v163 offset:8192
	;; [unrolled: 1-line block ×16, first 2 shown]
.Ltmp16:
	.loc	2 43 30                         ; standard.py:43:30 @[ matmul.py:29:33 ]
	s_wait_alu depctr_sa_sdst(0)
	s_lshr_b32 s8, s8, 27
.Ltmp17:
	.loc	1 31 20                         ; matmul.py:31:20
	s_wait_dscnt 0xf
	ds_load_u16_d16_hi v22, v163 offset:8960
	s_wait_dscnt 0xf
	ds_load_u16_d16_hi v21, v163 offset:8448
	;; [unrolled: 2-line block ×3, first 2 shown]
	ds_load_u16_d16_hi v174, v163 offset:13568
	s_wait_dscnt 0xb
	ds_load_u16_d16_hi v181, v163 offset:13184
	s_wait_dscnt 0xb
	;; [unrolled: 2-line block ×3, first 2 shown]
	ds_load_u16_d16_hi v182, v163 offset:13696
	ds_load_u16_d16_hi v23, v163 offset:9472
	;; [unrolled: 1-line block ×5, first 2 shown]
	s_wait_dscnt 0xf
	ds_load_u16_d16_hi v180, v163 offset:12672
	s_wait_dscnt 0xf
	ds_load_u16_d16_hi v179, v163 offset:10112
	;; [unrolled: 2-line block ×5, first 2 shown]
.Ltmp18:
	.loc	2 43 30                         ; standard.py:43:30 @[ matmul.py:29:33 ]
	s_wait_alu depctr_sa_sdst(0)
	s_add_co_i32 s39, s39, s8
	s_delay_alu instid0(SALU_CYCLE_1) | instskip(SKIP_2) | instid1(SALU_CYCLE_1)
	s_ashr_i32 s8, s39, 5
.Ltmp19:
	.loc	1 29 22                         ; matmul.py:29:22
	s_wait_alu depctr_sa_sdst(0)
	s_max_i32 s39, s8, 2
	s_cmp_eq_u32 s39, 2
	.loc	1 32 35                         ; matmul.py:32:35
	s_wait_dscnt 0x7
	v_wmma_f32_16x16x16_f16 v[57:64], v[21:24], v[17:20], 0
	v_wmma_f32_16x16x16_f16 v[41:48], v[21:24], v[5:8], 0
	;; [unrolled: 1-line block ×4, first 2 shown]
	s_wait_dscnt 0x1
	v_wmma_f32_16x16x16_f16 v[49:56], v[176:179], v[17:20], 0
	v_wmma_f32_16x16x16_f16 v[33:40], v[176:179], v[5:8], 0
	;; [unrolled: 1-line block ×8, first 2 shown]
	s_wait_dscnt 0x0
	v_wmma_f32_16x16x16_f16 v[49:56], v[180:183], v[65:68], v[49:56]
	v_wmma_f32_16x16x16_f16 v[33:40], v[180:183], v[69:72], v[33:40]
	;; [unrolled: 1-line block ×4, first 2 shown]
	.loc	1 30 20                         ; matmul.py:30:20
	s_wait_loadcnt 0x0
	s_barrier_signal -1
	s_barrier_wait -1
	global_inv scope:SCOPE_SE
	ds_store_b16 v196, v199
	ds_store_b16 v196, v198 offset:512
	ds_store_b16 v196, v201 offset:1024
	;; [unrolled: 1-line block ×15, first 2 shown]
	.loc	1 31 20                         ; matmul.py:31:20
	ds_store_b16 v197, v90 offset:8192
	ds_store_b16 v197, v89 offset:8704
	;; [unrolled: 1-line block ×16, first 2 shown]
	.loc	1 29 22                         ; matmul.py:29:22
	s_cbranch_scc1 .LBB0_181
; %bb.115:                              ; %.peel.next
	s_lshl_b64 s[8:9], s[2:3], 2
	s_lshl_b64 s[40:41], s[10:11], 2
	s_wait_alu depctr_sa_sdst(0)
	s_add_nc_u64 s[6:7], s[6:7], s[8:9]
	s_lshl_b64 s[8:9], s[2:3], 1
	s_add_nc_u64 s[4:5], s[4:5], s[40:41]
	s_lshl_b64 s[10:11], s[10:11], 1
	s_add_co_i32 s3, s39, -2
	s_sub_co_i32 s22, s22, 64
	s_branch .LBB0_117
.LBB0_116:                              ;   in Loop: Header=BB0_117 Depth=1
	.loc	1 31 20                         ; matmul.py:31:20
	ds_load_u16 v202, v163 offset:8704
	ds_load_u16 v201, v163 offset:8192
	;; [unrolled: 1-line block ×16, first 2 shown]
	.loc	1 29 22                         ; matmul.py:29:22
	s_add_co_i32 s3, s3, -1
	s_sub_co_i32 s22, s22, 32
	s_add_nc_u64 s[6:7], s[6:7], s[8:9]
	s_add_nc_u64 s[4:5], s[4:5], s[10:11]
	s_wait_alu depctr_sa_sdst(0)
	s_cmp_lg_u32 s3, 0
	.loc	1 31 20                         ; matmul.py:31:20
	s_wait_dscnt 0xf
	ds_load_u16_d16_hi v202, v163 offset:8960
	s_wait_dscnt 0xf
	ds_load_u16_d16_hi v201, v163 offset:8448
	;; [unrolled: 2-line block ×3, first 2 shown]
	ds_load_u16_d16_hi v207, v163 offset:13568
	s_wait_dscnt 0xb
	ds_load_u16_d16_hi v214, v163 offset:13184
	s_wait_dscnt 0xb
	;; [unrolled: 2-line block ×3, first 2 shown]
	ds_load_u16_d16_hi v215, v163 offset:13696
	ds_load_u16_d16_hi v203, v163 offset:9472
	;; [unrolled: 1-line block ×5, first 2 shown]
	s_wait_dscnt 0xf
	ds_load_u16_d16_hi v213, v163 offset:12672
	s_wait_dscnt 0xf
	ds_load_u16_d16_hi v212, v163 offset:10112
	;; [unrolled: 2-line block ×5, first 2 shown]
	.loc	1 32 35                         ; matmul.py:32:35
	s_wait_dscnt 0x7
	v_wmma_f32_16x16x16_f16 v[57:64], v[201:204], v[93:96], v[57:64]
	v_wmma_f32_16x16x16_f16 v[41:48], v[201:204], v[89:92], v[41:48]
	;; [unrolled: 1-line block ×4, first 2 shown]
	s_wait_dscnt 0x5
	v_wmma_f32_16x16x16_f16 v[57:64], v[205:208], v[65:68], v[57:64]
	s_wait_dscnt 0x1
	v_wmma_f32_16x16x16_f16 v[49:56], v[209:212], v[93:96], v[49:56]
	v_wmma_f32_16x16x16_f16 v[33:40], v[209:212], v[89:92], v[33:40]
	;; [unrolled: 1-line block ×7, first 2 shown]
	s_wait_dscnt 0x0
	v_wmma_f32_16x16x16_f16 v[49:56], v[213:216], v[65:68], v[49:56]
	v_wmma_f32_16x16x16_f16 v[33:40], v[213:216], v[69:72], v[33:40]
	;; [unrolled: 1-line block ×4, first 2 shown]
	.loc	1 30 20                         ; matmul.py:30:20
	s_wait_loadcnt 0x0
	s_barrier_signal -1
	s_barrier_wait -1
	global_inv scope:SCOPE_SE
	ds_store_b16 v196, v165
	ds_store_b16 v196, v164 offset:512
	ds_store_b16 v196, v167 offset:1024
	;; [unrolled: 1-line block ×15, first 2 shown]
	.loc	1 31 20                         ; matmul.py:31:20
	ds_store_b16 v197, v181 offset:8192
	ds_store_b16 v197, v180 offset:8704
	;; [unrolled: 1-line block ×16, first 2 shown]
	.loc	1 29 22                         ; matmul.py:29:22
	s_cbranch_scc0 .LBB0_181
.LBB0_117:                              ; =>This Inner Loop Header: Depth=1
	.loc	1 30 51                         ; matmul.py:30:51
	s_wait_alu depctr_sa_sdst(0)
	v_cmp_gt_i32_e32 vcc_lo, s22, v194
	v_dual_mov_b32 v164, 0 :: v_dual_mov_b32 v165, 0
	.loc	1 30 20 is_stmt 0               ; matmul.py:30:20
	s_and_saveexec_b32 s39, vcc_lo
	s_cbranch_execz .LBB0_119
; %bb.118:                              ;   in Loop: Header=BB0_117 Depth=1
	.loc	1 33 18 is_stmt 1               ; matmul.py:33:18
	v_add_co_u32 v65, s2, s4, v97
	s_wait_alu depctr_va_sdst(0)
	v_add_co_ci_u32_e64 v66, null, s5, v98, s2
	.loc	1 30 20                         ; matmul.py:30:20
	global_load_u16 v165, v[65:66], off
.LBB0_119:                              ;   in Loop: Header=BB0_117 Depth=1
	.loc	1 0 20 is_stmt 0                ; matmul.py:0:20
	s_or_b32 exec_lo, exec_lo, s39
	.loc	1 30 20                         ; matmul.py:30:20
	s_and_saveexec_b32 s39, vcc_lo
	s_cbranch_execz .LBB0_121
; %bb.120:                              ;   in Loop: Header=BB0_117 Depth=1
	.loc	1 33 18 is_stmt 1               ; matmul.py:33:18
	v_add_co_u32 v65, s2, s4, v99
	s_wait_alu depctr_va_sdst(0)
	v_add_co_ci_u32_e64 v66, null, s5, v100, s2
	.loc	1 30 20                         ; matmul.py:30:20
	global_load_u16 v164, v[65:66], off
.LBB0_121:                              ;   in Loop: Header=BB0_117 Depth=1
	.loc	1 0 20 is_stmt 0                ; matmul.py:0:20
	s_or_b32 exec_lo, exec_lo, s39
	v_dual_mov_b32 v166, 0 :: v_dual_mov_b32 v167, 0
	.loc	1 30 20                         ; matmul.py:30:20
	s_and_saveexec_b32 s39, vcc_lo
	s_cbranch_execz .LBB0_123
; %bb.122:                              ;   in Loop: Header=BB0_117 Depth=1
	.loc	1 33 18 is_stmt 1               ; matmul.py:33:18
	v_add_co_u32 v65, s2, s4, v101
	s_wait_alu depctr_va_sdst(0)
	v_add_co_ci_u32_e64 v66, null, s5, v102, s2
	.loc	1 30 20                         ; matmul.py:30:20
	global_load_u16 v167, v[65:66], off
.LBB0_123:                              ;   in Loop: Header=BB0_117 Depth=1
	.loc	1 0 20 is_stmt 0                ; matmul.py:0:20
	s_or_b32 exec_lo, exec_lo, s39
	.loc	1 30 20                         ; matmul.py:30:20
	s_and_saveexec_b32 s39, vcc_lo
	s_cbranch_execz .LBB0_125
; %bb.124:                              ;   in Loop: Header=BB0_117 Depth=1
	.loc	1 33 18 is_stmt 1               ; matmul.py:33:18
	v_add_co_u32 v65, s2, s4, v103
	s_wait_alu depctr_va_sdst(0)
	v_add_co_ci_u32_e64 v66, null, s5, v104, s2
	.loc	1 30 20                         ; matmul.py:30:20
	global_load_u16 v166, v[65:66], off
.LBB0_125:                              ;   in Loop: Header=BB0_117 Depth=1
	.loc	1 0 20 is_stmt 0                ; matmul.py:0:20
	s_or_b32 exec_lo, exec_lo, s39
	v_dual_mov_b32 v168, 0 :: v_dual_mov_b32 v169, 0
	.loc	1 30 20                         ; matmul.py:30:20
	;; [unrolled: 27-line block ×7, first 2 shown]
	s_and_saveexec_b32 s39, vcc_lo
	s_cbranch_execz .LBB0_147
; %bb.146:                              ;   in Loop: Header=BB0_117 Depth=1
	.loc	1 33 18 is_stmt 1               ; matmul.py:33:18
	v_add_co_u32 v65, s2, s4, v125
	s_wait_alu depctr_va_sdst(0)
	v_add_co_ci_u32_e64 v66, null, s5, v126, s2
	.loc	1 30 20                         ; matmul.py:30:20
	global_load_u16 v179, v[65:66], off
.LBB0_147:                              ;   in Loop: Header=BB0_117 Depth=1
	.loc	1 0 20 is_stmt 0                ; matmul.py:0:20
	s_or_b32 exec_lo, exec_lo, s39
	.loc	1 30 20                         ; matmul.py:30:20
	s_and_saveexec_b32 s2, vcc_lo
	s_cbranch_execz .LBB0_149
; %bb.148:                              ;   in Loop: Header=BB0_117 Depth=1
	.loc	1 34 18 is_stmt 1               ; matmul.py:34:18
	v_add_co_u32 v65, vcc_lo, s4, v127
	s_wait_alu depctr_va_vcc(0)
	v_add_co_ci_u32_e64 v66, null, s5, v128, vcc_lo
	.loc	1 30 20                         ; matmul.py:30:20
	global_load_u16 v178, v[65:66], off
.LBB0_149:                              ;   in Loop: Header=BB0_117 Depth=1
	.loc	1 0 20 is_stmt 0                ; matmul.py:0:20
	s_wait_alu depctr_sa_sdst(0)
	s_or_b32 exec_lo, exec_lo, s2
	.loc	1 30 20                         ; matmul.py:30:20
	s_wait_loadcnt_dscnt 0x0
	s_barrier_signal -1
	v_dual_mov_b32 v180, 0 :: v_dual_mov_b32 v181, 0
	.loc	1 31 51 is_stmt 1               ; matmul.py:31:51
	s_cmp_ge_i32 s12, s22
	.loc	1 30 20                         ; matmul.py:30:20
	s_barrier_wait -1
	global_inv scope:SCOPE_SE
	ds_load_b128 v[93:96], v161
	ds_load_b128 v[89:92], v161 offset:2048
	ds_load_b128 v[81:84], v161 offset:4096
	;; [unrolled: 1-line block ×3, first 2 shown]
	ds_load_b128 v[65:68], v162
	ds_load_b128 v[69:72], v162 offset:2048
	ds_load_b128 v[73:76], v162 offset:4096
	;; [unrolled: 1-line block ×3, first 2 shown]
	.loc	1 31 20                         ; matmul.py:31:20
	s_cbranch_scc0 .LBB0_165
; %bb.150:                              ;   in Loop: Header=BB0_117 Depth=1
	.loc	1 31 51 is_stmt 0               ; matmul.py:31:51
	s_cmp_ge_i32 s13, s22
	.loc	1 31 20                         ; matmul.py:31:20
	s_cbranch_scc0 .LBB0_166
.LBB0_151:                              ;   in Loop: Header=BB0_117 Depth=1
	.loc	1 0 20                          ; matmul.py:0:20
	v_dual_mov_b32 v182, 0 :: v_dual_mov_b32 v183, 0
	.loc	1 31 51                         ; matmul.py:31:51
	s_cmp_ge_i32 s14, s22
	.loc	1 31 20                         ; matmul.py:31:20
	s_cbranch_scc0 .LBB0_167
.LBB0_152:                              ;   in Loop: Header=BB0_117 Depth=1
	.loc	1 31 51                         ; matmul.py:31:51
	s_cmp_ge_i32 s15, s22
	.loc	1 31 20                         ; matmul.py:31:20
	s_cbranch_scc0 .LBB0_168
.LBB0_153:                              ;   in Loop: Header=BB0_117 Depth=1
	.loc	1 0 20                          ; matmul.py:0:20
	v_dual_mov_b32 v184, 0 :: v_dual_mov_b32 v185, 0
	.loc	1 31 51                         ; matmul.py:31:51
	s_cmp_ge_i32 s23, s22
	.loc	1 31 20                         ; matmul.py:31:20
	s_cbranch_scc0 .LBB0_169
.LBB0_154:                              ;   in Loop: Header=BB0_117 Depth=1
	.loc	1 31 51                         ; matmul.py:31:51
	s_cmp_ge_i32 s27, s22
	.loc	1 31 20                         ; matmul.py:31:20
	s_cbranch_scc0 .LBB0_170
.LBB0_155:                              ;   in Loop: Header=BB0_117 Depth=1
	.loc	1 0 20                          ; matmul.py:0:20
	v_dual_mov_b32 v186, 0 :: v_dual_mov_b32 v187, 0
	.loc	1 31 51                         ; matmul.py:31:51
	s_cmp_ge_i32 s28, s22
	.loc	1 31 20                         ; matmul.py:31:20
	s_cbranch_scc0 .LBB0_171
.LBB0_156:                              ;   in Loop: Header=BB0_117 Depth=1
	.loc	1 31 51                         ; matmul.py:31:51
	s_cmp_ge_i32 s29, s22
	.loc	1 31 20                         ; matmul.py:31:20
	s_cbranch_scc0 .LBB0_172
.LBB0_157:                              ;   in Loop: Header=BB0_117 Depth=1
	.loc	1 0 20                          ; matmul.py:0:20
	v_dual_mov_b32 v188, 0 :: v_dual_mov_b32 v189, 0
	.loc	1 31 51                         ; matmul.py:31:51
	s_cmp_ge_i32 s30, s22
	.loc	1 31 20                         ; matmul.py:31:20
	s_cbranch_scc0 .LBB0_173
.LBB0_158:                              ;   in Loop: Header=BB0_117 Depth=1
	.loc	1 31 51                         ; matmul.py:31:51
	s_cmp_ge_i32 s31, s22
	.loc	1 31 20                         ; matmul.py:31:20
	s_cbranch_scc0 .LBB0_174
.LBB0_159:                              ;   in Loop: Header=BB0_117 Depth=1
	.loc	1 0 20                          ; matmul.py:0:20
	v_dual_mov_b32 v190, 0 :: v_dual_mov_b32 v191, 0
	.loc	1 31 51                         ; matmul.py:31:51
	s_cmp_ge_i32 s33, s22
	.loc	1 31 20                         ; matmul.py:31:20
	s_cbranch_scc0 .LBB0_175
.LBB0_160:                              ;   in Loop: Header=BB0_117 Depth=1
	.loc	1 31 51                         ; matmul.py:31:51
	s_cmp_ge_i32 s34, s22
	.loc	1 31 20                         ; matmul.py:31:20
	s_cbranch_scc0 .LBB0_176
.LBB0_161:                              ;   in Loop: Header=BB0_117 Depth=1
	.loc	1 0 20                          ; matmul.py:0:20
	v_mov_b32_e32 v192, 0
	v_mov_b32_e32 v198, 0
	.loc	1 31 51                         ; matmul.py:31:51
	s_cmp_ge_i32 s35, s22
	.loc	1 31 20                         ; matmul.py:31:20
	s_cbranch_scc0 .LBB0_177
.LBB0_162:                              ;   in Loop: Header=BB0_117 Depth=1
	.loc	1 31 51                         ; matmul.py:31:51
	s_cmp_ge_i32 s36, s22
	.loc	1 31 20                         ; matmul.py:31:20
	s_cbranch_scc0 .LBB0_178
.LBB0_163:                              ;   in Loop: Header=BB0_117 Depth=1
	.loc	1 0 20                          ; matmul.py:0:20
	v_dual_mov_b32 v199, 0 :: v_dual_mov_b32 v200, 0
	.loc	1 31 51                         ; matmul.py:31:51
	s_cmp_ge_i32 s37, s22
	.loc	1 31 20                         ; matmul.py:31:20
	s_cbranch_scc0 .LBB0_179
.LBB0_164:                              ;   in Loop: Header=BB0_117 Depth=1
	.loc	1 31 51                         ; matmul.py:31:51
	s_cmp_ge_i32 s38, s22
	.loc	1 31 20                         ; matmul.py:31:20
	s_cbranch_scc1 .LBB0_116
	s_branch .LBB0_180
.LBB0_165:                              ;   in Loop: Header=BB0_117 Depth=1
	.loc	1 34 18 is_stmt 1               ; matmul.py:34:18
	v_add_co_u32 v181, vcc_lo, s6, v129
	s_wait_alu depctr_va_vcc(0)
	v_add_co_ci_u32_e64 v182, null, s7, v130, vcc_lo
	.loc	1 31 20                         ; matmul.py:31:20
	global_load_u16 v181, v[181:182], off
	.loc	1 31 51 is_stmt 0               ; matmul.py:31:51
	s_cmp_ge_i32 s13, s22
	.loc	1 31 20                         ; matmul.py:31:20
	s_cbranch_scc1 .LBB0_151
.LBB0_166:                              ;   in Loop: Header=BB0_117 Depth=1
	.loc	1 34 18 is_stmt 1               ; matmul.py:34:18
	v_add_co_u32 v182, vcc_lo, s6, v131
	s_wait_alu depctr_va_vcc(0)
	v_add_co_ci_u32_e64 v183, null, s7, v132, vcc_lo
	.loc	1 31 20                         ; matmul.py:31:20
	global_load_u16 v180, v[182:183], off
	v_dual_mov_b32 v182, 0 :: v_dual_mov_b32 v183, 0
	.loc	1 31 51 is_stmt 0               ; matmul.py:31:51
	s_cmp_ge_i32 s14, s22
	.loc	1 31 20                         ; matmul.py:31:20
	s_cbranch_scc1 .LBB0_152
.LBB0_167:                              ;   in Loop: Header=BB0_117 Depth=1
	.loc	1 34 18 is_stmt 1               ; matmul.py:34:18
	v_add_co_u32 v183, vcc_lo, s6, v133
	s_wait_alu depctr_va_vcc(0)
	v_add_co_ci_u32_e64 v184, null, s7, v134, vcc_lo
	.loc	1 31 20                         ; matmul.py:31:20
	global_load_u16 v183, v[183:184], off
	.loc	1 31 51 is_stmt 0               ; matmul.py:31:51
	s_cmp_ge_i32 s15, s22
	.loc	1 31 20                         ; matmul.py:31:20
	s_cbranch_scc1 .LBB0_153
.LBB0_168:                              ;   in Loop: Header=BB0_117 Depth=1
	.loc	1 34 18 is_stmt 1               ; matmul.py:34:18
	v_add_co_u32 v184, vcc_lo, s6, v135
	s_wait_alu depctr_va_vcc(0)
	v_add_co_ci_u32_e64 v185, null, s7, v136, vcc_lo
	.loc	1 31 20                         ; matmul.py:31:20
	global_load_u16 v182, v[184:185], off
	v_dual_mov_b32 v184, 0 :: v_dual_mov_b32 v185, 0
	.loc	1 31 51 is_stmt 0               ; matmul.py:31:51
	s_cmp_ge_i32 s23, s22
	.loc	1 31 20                         ; matmul.py:31:20
	s_cbranch_scc1 .LBB0_154
.LBB0_169:                              ;   in Loop: Header=BB0_117 Depth=1
	.loc	1 34 18 is_stmt 1               ; matmul.py:34:18
	v_add_co_u32 v185, vcc_lo, s6, v137
	s_wait_alu depctr_va_vcc(0)
	v_add_co_ci_u32_e64 v186, null, s7, v138, vcc_lo
	.loc	1 31 20                         ; matmul.py:31:20
	global_load_u16 v185, v[185:186], off
	.loc	1 31 51 is_stmt 0               ; matmul.py:31:51
	s_cmp_ge_i32 s27, s22
	.loc	1 31 20                         ; matmul.py:31:20
	s_cbranch_scc1 .LBB0_155
.LBB0_170:                              ;   in Loop: Header=BB0_117 Depth=1
	.loc	1 34 18 is_stmt 1               ; matmul.py:34:18
	v_add_co_u32 v186, vcc_lo, s6, v139
	s_wait_alu depctr_va_vcc(0)
	v_add_co_ci_u32_e64 v187, null, s7, v140, vcc_lo
	.loc	1 31 20                         ; matmul.py:31:20
	global_load_u16 v184, v[186:187], off
	v_dual_mov_b32 v186, 0 :: v_dual_mov_b32 v187, 0
	.loc	1 31 51 is_stmt 0               ; matmul.py:31:51
	s_cmp_ge_i32 s28, s22
	.loc	1 31 20                         ; matmul.py:31:20
	s_cbranch_scc1 .LBB0_156
.LBB0_171:                              ;   in Loop: Header=BB0_117 Depth=1
	.loc	1 34 18 is_stmt 1               ; matmul.py:34:18
	v_add_co_u32 v187, vcc_lo, s6, v141
	s_wait_alu depctr_va_vcc(0)
	v_add_co_ci_u32_e64 v188, null, s7, v142, vcc_lo
	.loc	1 31 20                         ; matmul.py:31:20
	global_load_u16 v187, v[187:188], off
	.loc	1 31 51 is_stmt 0               ; matmul.py:31:51
	s_cmp_ge_i32 s29, s22
	.loc	1 31 20                         ; matmul.py:31:20
	s_cbranch_scc1 .LBB0_157
.LBB0_172:                              ;   in Loop: Header=BB0_117 Depth=1
	.loc	1 34 18 is_stmt 1               ; matmul.py:34:18
	v_add_co_u32 v188, vcc_lo, s6, v143
	s_wait_alu depctr_va_vcc(0)
	v_add_co_ci_u32_e64 v189, null, s7, v144, vcc_lo
	.loc	1 31 20                         ; matmul.py:31:20
	global_load_u16 v186, v[188:189], off
	v_dual_mov_b32 v188, 0 :: v_dual_mov_b32 v189, 0
	.loc	1 31 51 is_stmt 0               ; matmul.py:31:51
	s_cmp_ge_i32 s30, s22
	.loc	1 31 20                         ; matmul.py:31:20
	s_cbranch_scc1 .LBB0_158
.LBB0_173:                              ;   in Loop: Header=BB0_117 Depth=1
	.loc	1 34 18 is_stmt 1               ; matmul.py:34:18
	v_add_co_u32 v189, vcc_lo, s6, v145
	s_wait_alu depctr_va_vcc(0)
	v_add_co_ci_u32_e64 v190, null, s7, v146, vcc_lo
	.loc	1 31 20                         ; matmul.py:31:20
	global_load_u16 v189, v[189:190], off
	.loc	1 31 51 is_stmt 0               ; matmul.py:31:51
	s_cmp_ge_i32 s31, s22
	.loc	1 31 20                         ; matmul.py:31:20
	s_cbranch_scc1 .LBB0_159
.LBB0_174:                              ;   in Loop: Header=BB0_117 Depth=1
	.loc	1 34 18 is_stmt 1               ; matmul.py:34:18
	v_add_co_u32 v190, vcc_lo, s6, v147
	s_wait_alu depctr_va_vcc(0)
	v_add_co_ci_u32_e64 v191, null, s7, v148, vcc_lo
	.loc	1 31 20                         ; matmul.py:31:20
	global_load_u16 v188, v[190:191], off
	v_dual_mov_b32 v190, 0 :: v_dual_mov_b32 v191, 0
	.loc	1 31 51 is_stmt 0               ; matmul.py:31:51
	s_cmp_ge_i32 s33, s22
	.loc	1 31 20                         ; matmul.py:31:20
	s_cbranch_scc1 .LBB0_160
.LBB0_175:                              ;   in Loop: Header=BB0_117 Depth=1
	.loc	1 34 18 is_stmt 1               ; matmul.py:34:18
	v_add_co_u32 v191, vcc_lo, s6, v149
	s_wait_alu depctr_va_vcc(0)
	v_add_co_ci_u32_e64 v192, null, s7, v150, vcc_lo
	.loc	1 31 20                         ; matmul.py:31:20
	global_load_u16 v191, v[191:192], off
	.loc	1 31 51 is_stmt 0               ; matmul.py:31:51
	s_cmp_ge_i32 s34, s22
	.loc	1 31 20                         ; matmul.py:31:20
	s_cbranch_scc1 .LBB0_161
.LBB0_176:                              ;   in Loop: Header=BB0_117 Depth=1
	.loc	1 34 18 is_stmt 1               ; matmul.py:34:18
	v_add_co_u32 v198, vcc_lo, s6, v151
	s_wait_alu depctr_va_vcc(0)
	v_add_co_ci_u32_e64 v199, null, s7, v152, vcc_lo
	.loc	1 31 20                         ; matmul.py:31:20
	global_load_u16 v190, v[198:199], off
	v_mov_b32_e32 v192, 0
	v_mov_b32_e32 v198, 0
	.loc	1 31 51 is_stmt 0               ; matmul.py:31:51
	s_cmp_ge_i32 s35, s22
	.loc	1 31 20                         ; matmul.py:31:20
	s_cbranch_scc1 .LBB0_162
.LBB0_177:                              ;   in Loop: Header=BB0_117 Depth=1
	.loc	1 34 18 is_stmt 1               ; matmul.py:34:18
	v_add_co_u32 v198, vcc_lo, s6, v153
	s_wait_alu depctr_va_vcc(0)
	v_add_co_ci_u32_e64 v199, null, s7, v154, vcc_lo
	.loc	1 31 20                         ; matmul.py:31:20
	global_load_u16 v198, v[198:199], off
	.loc	1 31 51 is_stmt 0               ; matmul.py:31:51
	s_cmp_ge_i32 s36, s22
	.loc	1 31 20                         ; matmul.py:31:20
	s_cbranch_scc1 .LBB0_163
.LBB0_178:                              ;   in Loop: Header=BB0_117 Depth=1
	.loc	1 34 18 is_stmt 1               ; matmul.py:34:18
	v_add_co_u32 v199, vcc_lo, s6, v155
	s_wait_alu depctr_va_vcc(0)
	v_add_co_ci_u32_e64 v200, null, s7, v156, vcc_lo
	.loc	1 31 20                         ; matmul.py:31:20
	global_load_u16 v192, v[199:200], off
	v_dual_mov_b32 v199, 0 :: v_dual_mov_b32 v200, 0
	.loc	1 31 51 is_stmt 0               ; matmul.py:31:51
	s_cmp_ge_i32 s37, s22
	.loc	1 31 20                         ; matmul.py:31:20
	s_cbranch_scc1 .LBB0_164
.LBB0_179:                              ;   in Loop: Header=BB0_117 Depth=1
	.loc	1 34 18 is_stmt 1               ; matmul.py:34:18
	v_add_co_u32 v200, vcc_lo, s6, v157
	s_wait_alu depctr_va_vcc(0)
	v_add_co_ci_u32_e64 v201, null, s7, v158, vcc_lo
	.loc	1 31 20                         ; matmul.py:31:20
	global_load_u16 v200, v[200:201], off
	.loc	1 31 51 is_stmt 0               ; matmul.py:31:51
	s_cmp_ge_i32 s38, s22
	.loc	1 31 20                         ; matmul.py:31:20
	s_cbranch_scc1 .LBB0_116
.LBB0_180:                              ;   in Loop: Header=BB0_117 Depth=1
	.loc	1 29 22 is_stmt 1               ; matmul.py:29:22
	v_add_co_u32 v201, vcc_lo, s6, v159
	s_wait_alu depctr_va_vcc(0)
	v_add_co_ci_u32_e64 v202, null, s7, v160, vcc_lo
	.loc	1 31 20                         ; matmul.py:31:20
	global_load_u16 v199, v[201:202], off
	s_branch .LBB0_116
.LBB0_181:                              ; %Flow321
	.loc	1 0 20 is_stmt 0                ; matmul.py:0:20
	s_load_b64 s[22:23], s[0:1], 0x34
	.loc	1 30 20 is_stmt 1               ; matmul.py:30:20
	s_wait_loadcnt_dscnt 0x0
	s_barrier_signal -1
	s_and_b32 s0, s17, 4
	.loc	1 32 35                         ; matmul.py:32:35
	s_and_not1_b32 vcc_lo, exec_lo, s25
	.loc	1 30 20                         ; matmul.py:30:20
	s_barrier_wait -1
	global_inv scope:SCOPE_SE
	.loc	1 32 35                         ; matmul.py:32:35
	s_wait_alu depctr_sa_sdst(0)
	s_cbranch_vccnz .LBB0_183
; %bb.182:
	.loc	1 30 20                         ; matmul.py:30:20
	v_and_b32_e32 v0, 16, v0
	.loc	1 31 20                         ; matmul.py:31:20
	v_lshlrev_b32_e32 v65, 1, v195
	s_and_b32 s1, s26, 0x60
	.loc	1 30 20                         ; matmul.py:30:20
	v_lshlrev_b32_e32 v67, 6, v195
	v_lshlrev_b32_e32 v68, 3, v193
	.loc	1 31 20                         ; matmul.py:31:20
	v_lshl_add_u32 v66, v0, 7, 0
	s_delay_alu instid0(VALU_DEP_2) | instskip(NEXT) | instid1(VALU_DEP_2)
	.loc	1 30 20                         ; matmul.py:30:20
	v_and_or_b32 v67, 0x430, v68, v67
	.loc	1 31 20                         ; matmul.py:31:20
	v_add3_u32 v101, v66, v65, s1
	ds_load_u16 v72, v101 offset:9856
	ds_load_u16 v66, v101 offset:12800
	;; [unrolled: 1-line block ×3, first 2 shown]
	.loc	1 30 20                         ; matmul.py:30:20
	v_xor_b32_e32 v0, v67, v0
	.loc	1 31 20                         ; matmul.py:31:20
	ds_load_u16 v78, v101 offset:12928
	ds_load_u16 v67, v101 offset:13312
	;; [unrolled: 1-line block ×8, first 2 shown]
	s_wait_dscnt 0x8
	ds_load_u16_d16_hi v65, v101 offset:12544
	ds_load_u16 v76, v101 offset:9728
	ds_load_u16 v75, v101 offset:9216
	;; [unrolled: 1-line block ×3, first 2 shown]
	.loc	1 30 20                         ; matmul.py:30:20
	v_add_nc_u32_e32 v93, 0, v0
	v_xad_u32 v0, v0, 32, 0
	.loc	1 31 20                         ; matmul.py:31:20
	ds_load_u16 v68, v101 offset:13824
	ds_load_u16 v77, v101 offset:12416
	ds_load_u16_d16_hi v72, v101 offset:10112
	ds_load_u16_d16_hi v66, v101 offset:13056
	.loc	1 30 20                         ; matmul.py:30:20
	ds_load_b128 v[81:84], v93 offset:6144
	ds_load_b128 v[85:88], v93
	.loc	1 31 20                         ; matmul.py:31:20
	s_wait_dscnt 0xc
	ds_load_u16_d16_hi v74, v101 offset:8960
	ds_load_u16_d16_hi v69, v101 offset:8576
	s_wait_dscnt 0xd
	ds_load_u16_d16_hi v71, v101 offset:9600
	s_wait_dscnt 0xd
	;; [unrolled: 2-line block ×5, first 2 shown]
	ds_load_u16_d16_hi v73, v101 offset:8448
	.loc	1 30 20                         ; matmul.py:30:20
	ds_load_b128 v[89:92], v93 offset:4096
	ds_load_b128 v[93:96], v93 offset:2048
	.loc	1 31 20                         ; matmul.py:31:20
	ds_load_u16_d16_hi v67, v101 offset:13568
	ds_load_u16_d16_hi v78, v101 offset:13184
	;; [unrolled: 1-line block ×4, first 2 shown]
	.loc	1 30 20                         ; matmul.py:30:20
	ds_load_b128 v[97:100], v0
	.loc	1 31 20                         ; matmul.py:31:20
	s_wait_dscnt 0x13
	ds_load_u16_d16_hi v68, v101 offset:14080
	s_wait_dscnt 0x13
	ds_load_u16_d16_hi v77, v101 offset:12672
	.loc	1 30 20                         ; matmul.py:30:20
	ds_load_b128 v[101:104], v0 offset:2048
	ds_load_b128 v[105:108], v0 offset:4096
	ds_load_b128 v[109:112], v0 offset:6144
	.loc	1 32 35                         ; matmul.py:32:35
	s_wait_dscnt 0xf
	v_wmma_f32_16x16x16_f16 v[49:56], v[69:72], v[85:88], v[49:56]
	v_wmma_f32_16x16x16_f16 v[1:8], v[69:72], v[81:84], v[1:8]
	s_wait_dscnt 0xc
	v_wmma_f32_16x16x16_f16 v[57:64], v[73:76], v[85:88], v[57:64]
	s_wait_dscnt 0xb
	;; [unrolled: 2-line block ×3, first 2 shown]
	v_wmma_f32_16x16x16_f16 v[41:48], v[73:76], v[93:96], v[41:48]
	v_wmma_f32_16x16x16_f16 v[33:40], v[69:72], v[93:96], v[33:40]
	;; [unrolled: 1-line block ×4, first 2 shown]
	s_wait_dscnt 0x4
	v_wmma_f32_16x16x16_f16 v[57:64], v[65:68], v[97:100], v[57:64]
	s_wait_dscnt 0x3
	v_wmma_f32_16x16x16_f16 v[49:56], v[77:80], v[97:100], v[49:56]
	;; [unrolled: 2-line block ×3, first 2 shown]
	v_wmma_f32_16x16x16_f16 v[33:40], v[77:80], v[101:104], v[33:40]
	s_wait_dscnt 0x1
	v_wmma_f32_16x16x16_f16 v[25:32], v[65:68], v[105:108], v[25:32]
	v_wmma_f32_16x16x16_f16 v[17:24], v[77:80], v[105:108], v[17:24]
	s_wait_dscnt 0x0
	v_wmma_f32_16x16x16_f16 v[9:16], v[65:68], v[109:112], v[9:16]
	v_wmma_f32_16x16x16_f16 v[1:8], v[77:80], v[109:112], v[1:8]
.LBB0_183:                              ; %._crit_edge._crit_edge
	.loc	1 22 51                         ; matmul.py:22:51
	s_lshl_b32 s0, s0, 2
	v_lshrrev_b32_e32 v65, 1, v193
	.loc	1 22 38 is_stmt 0               ; matmul.py:22:38
	s_wait_alu depctr_sa_sdst(0)
	v_or3_b32 v0, s0, v195, s16
	s_delay_alu instid0(VALU_DEP_2) | instskip(SKIP_1) | instid1(VALU_DEP_2)
	.loc	1 23 38 is_stmt 1               ; matmul.py:23:38
	v_and_or_b32 v81, v65, 56, s24
	.loc	1 39 33                         ; matmul.py:39:33
	s_wait_kmcnt 0x0
	v_mul_lo_u32 v65, v0, s22
	.loc	1 40 33                         ; matmul.py:40:33
	v_cmp_gt_i32_e64 s15, s20, v0
	s_delay_alu instid0(VALU_DEP_3) | instskip(SKIP_1) | instid1(VALU_DEP_4)
	.loc	1 39 64                         ; matmul.py:39:64
	v_mul_lo_u32 v67, v81, s23
	.loc	1 40 58                         ; matmul.py:40:58
	v_cmp_gt_i32_e32 vcc_lo, s21, v81
	.loc	1 39 21                         ; matmul.py:39:21
	v_ashrrev_i32_e32 v66, 31, v65
	s_delay_alu instid0(VALU_DEP_3) | instskip(NEXT) | instid1(VALU_DEP_2)
	.loc	1 39 52 is_stmt 0               ; matmul.py:39:52
	v_ashrrev_i32_e32 v68, 31, v67
	.loc	1 39 21                         ; matmul.py:39:21
	v_lshlrev_b64_e32 v[69:70], 1, v[65:66]
	s_delay_alu instid0(VALU_DEP_2) | instskip(NEXT) | instid1(VALU_DEP_2)
	v_lshlrev_b64_e32 v[65:66], 1, v[67:68]
	v_add_co_u32 v83, s0, s18, v69
	s_wait_alu depctr_va_sdst(0)
	s_delay_alu instid0(VALU_DEP_3)
	v_add_co_ci_u32_e64 v84, null, s19, v70, s0
	.loc	1 40 39 is_stmt 1               ; matmul.py:40:39
	s_and_b32 s0, s15, vcc_lo
	.loc	1 41 21                         ; matmul.py:41:21
	s_wait_alu depctr_sa_sdst(0)
	s_and_saveexec_b32 s1, s0
	s_cbranch_execz .LBB0_185
; %bb.184:
	.loc	1 0 21 is_stmt 0                ; matmul.py:0:21
	v_add_co_u32 v67, s0, v83, v65
	s_wait_alu depctr_va_sdst(0)
	v_add_co_ci_u32_e64 v68, null, v84, v66, s0
	v_cvt_f16_f32_e32 v57, v57
	.loc	1 41 21                         ; matmul.py:41:21
	global_store_b16 v[67:68], v57, off
.LBB0_185:
	.loc	1 0 21                          ; matmul.py:0:21
	s_wait_alu depctr_sa_sdst(0)
	s_or_b32 exec_lo, exec_lo, s1
	.loc	1 23 38 is_stmt 1               ; matmul.py:23:38
	v_or_b32_e32 v57, 1, v81
	s_delay_alu instid0(VALU_DEP_1) | instskip(SKIP_3) | instid1(VALU_DEP_1)
	.loc	1 39 64                         ; matmul.py:39:64
	v_mul_lo_u32 v67, s23, v57
	.loc	1 40 58                         ; matmul.py:40:58
	v_cmp_gt_i32_e64 s0, s21, v57
	.loc	1 40 39 is_stmt 0               ; matmul.py:40:39
	s_and_b32 s1, s0, s15
	.loc	1 39 52 is_stmt 1               ; matmul.py:39:52
	v_ashrrev_i32_e32 v68, 31, v67
	v_lshlrev_b64_e32 v[67:68], 1, v[67:68]
	.loc	1 41 21                         ; matmul.py:41:21
	s_wait_alu depctr_sa_sdst(0)
	s_and_saveexec_b32 s2, s1
	s_cbranch_execz .LBB0_187
; %bb.186:
	.loc	1 0 21 is_stmt 0                ; matmul.py:0:21
	s_delay_alu instid0(VALU_DEP_1)
	.loc	1 39 52 is_stmt 1               ; matmul.py:39:52
	v_add_co_u32 v57, s1, v83, v67
	.loc	1 35 23                         ; matmul.py:35:23
	v_cvt_f16_f32_e32 v69, v58
	.loc	1 39 52                         ; matmul.py:39:52
	s_wait_alu depctr_va_sdst(0)
	v_add_co_ci_u32_e64 v58, null, v84, v68, s1
	.loc	1 41 21                         ; matmul.py:41:21
	global_store_b16 v[57:58], v69, off
.LBB0_187:
	.loc	1 0 21 is_stmt 0                ; matmul.py:0:21
	s_wait_alu depctr_sa_sdst(0)
	s_or_b32 exec_lo, exec_lo, s2
	.loc	1 23 38 is_stmt 1               ; matmul.py:23:38
	v_or_b32_e32 v69, 2, v81
	s_delay_alu instid0(VALU_DEP_1) | instskip(SKIP_3) | instid1(VALU_DEP_1)
	.loc	1 39 64                         ; matmul.py:39:64
	v_mul_lo_u32 v57, s23, v69
	.loc	1 40 58                         ; matmul.py:40:58
	v_cmp_gt_i32_e64 s1, s21, v69
	.loc	1 40 39 is_stmt 0               ; matmul.py:40:39
	s_and_b32 s2, s1, s15
	.loc	1 39 52 is_stmt 1               ; matmul.py:39:52
	v_ashrrev_i32_e32 v58, 31, v57
	v_lshlrev_b64_e32 v[57:58], 1, v[57:58]
	.loc	1 41 21                         ; matmul.py:41:21
	s_wait_alu depctr_sa_sdst(0)
	s_and_saveexec_b32 s3, s2
	s_cbranch_execz .LBB0_189
; %bb.188:
	.loc	1 0 21 is_stmt 0                ; matmul.py:0:21
	s_delay_alu instid0(VALU_DEP_1)
	.loc	1 39 52 is_stmt 1               ; matmul.py:39:52
	v_add_co_u32 v69, s2, v83, v57
	.loc	1 35 23                         ; matmul.py:35:23
	v_cvt_f16_f32_e32 v59, v59
	.loc	1 39 52                         ; matmul.py:39:52
	s_wait_alu depctr_va_sdst(0)
	v_add_co_ci_u32_e64 v70, null, v84, v58, s2
	.loc	1 41 21                         ; matmul.py:41:21
	global_store_b16 v[69:70], v59, off
.LBB0_189:
	.loc	1 0 21 is_stmt 0                ; matmul.py:0:21
	s_wait_alu depctr_sa_sdst(0)
	s_or_b32 exec_lo, exec_lo, s3
	.loc	1 23 38 is_stmt 1               ; matmul.py:23:38
	v_or_b32_e32 v59, 3, v81
	s_delay_alu instid0(VALU_DEP_1) | instskip(SKIP_3) | instid1(VALU_DEP_1)
	.loc	1 39 64                         ; matmul.py:39:64
	v_mul_lo_u32 v69, s23, v59
	.loc	1 40 58                         ; matmul.py:40:58
	v_cmp_gt_i32_e64 s2, s21, v59
	.loc	1 40 39 is_stmt 0               ; matmul.py:40:39
	s_and_b32 s3, s2, s15
	.loc	1 39 52 is_stmt 1               ; matmul.py:39:52
	v_ashrrev_i32_e32 v70, 31, v69
	v_lshlrev_b64_e32 v[69:70], 1, v[69:70]
	.loc	1 41 21                         ; matmul.py:41:21
	s_wait_alu depctr_sa_sdst(0)
	s_and_saveexec_b32 s4, s3
	s_cbranch_execz .LBB0_191
; %bb.190:
	.loc	1 0 21 is_stmt 0                ; matmul.py:0:21
	s_delay_alu instid0(VALU_DEP_1)
	.loc	1 39 52 is_stmt 1               ; matmul.py:39:52
	v_add_co_u32 v59, s3, v83, v69
	.loc	1 35 23                         ; matmul.py:35:23
	v_cvt_f16_f32_e32 v71, v60
	.loc	1 39 52                         ; matmul.py:39:52
	s_wait_alu depctr_va_sdst(0)
	v_add_co_ci_u32_e64 v60, null, v84, v70, s3
	.loc	1 41 21                         ; matmul.py:41:21
	global_store_b16 v[59:60], v71, off
.LBB0_191:
	.loc	1 0 21 is_stmt 0                ; matmul.py:0:21
	s_wait_alu depctr_sa_sdst(0)
	s_or_b32 exec_lo, exec_lo, s4
	.loc	1 23 38 is_stmt 1               ; matmul.py:23:38
	v_or_b32_e32 v71, 4, v81
	s_delay_alu instid0(VALU_DEP_1) | instskip(SKIP_3) | instid1(VALU_DEP_1)
	.loc	1 39 64                         ; matmul.py:39:64
	v_mul_lo_u32 v59, s23, v71
	.loc	1 40 58                         ; matmul.py:40:58
	v_cmp_gt_i32_e64 s3, s21, v71
	.loc	1 40 39 is_stmt 0               ; matmul.py:40:39
	s_and_b32 s4, s3, s15
	.loc	1 39 52 is_stmt 1               ; matmul.py:39:52
	v_ashrrev_i32_e32 v60, 31, v59
	v_lshlrev_b64_e32 v[59:60], 1, v[59:60]
	.loc	1 41 21                         ; matmul.py:41:21
	s_wait_alu depctr_sa_sdst(0)
	s_and_saveexec_b32 s5, s4
	s_cbranch_execz .LBB0_193
; %bb.192:
	.loc	1 0 21 is_stmt 0                ; matmul.py:0:21
	s_delay_alu instid0(VALU_DEP_1)
	.loc	1 39 52 is_stmt 1               ; matmul.py:39:52
	v_add_co_u32 v71, s4, v83, v59
	.loc	1 35 23                         ; matmul.py:35:23
	v_cvt_f16_f32_e32 v61, v61
	.loc	1 39 52                         ; matmul.py:39:52
	s_wait_alu depctr_va_sdst(0)
	v_add_co_ci_u32_e64 v72, null, v84, v60, s4
	.loc	1 41 21                         ; matmul.py:41:21
	global_store_b16 v[71:72], v61, off
.LBB0_193:
	.loc	1 0 21 is_stmt 0                ; matmul.py:0:21
	s_wait_alu depctr_sa_sdst(0)
	s_or_b32 exec_lo, exec_lo, s5
	.loc	1 23 38 is_stmt 1               ; matmul.py:23:38
	v_or_b32_e32 v61, 5, v81
	s_delay_alu instid0(VALU_DEP_1) | instskip(SKIP_3) | instid1(VALU_DEP_1)
	.loc	1 39 64                         ; matmul.py:39:64
	v_mul_lo_u32 v71, s23, v61
	.loc	1 40 58                         ; matmul.py:40:58
	v_cmp_gt_i32_e64 s4, s21, v61
	.loc	1 40 39 is_stmt 0               ; matmul.py:40:39
	s_and_b32 s5, s4, s15
	.loc	1 39 52 is_stmt 1               ; matmul.py:39:52
	v_ashrrev_i32_e32 v72, 31, v71
	v_lshlrev_b64_e32 v[71:72], 1, v[71:72]
	.loc	1 41 21                         ; matmul.py:41:21
	s_wait_alu depctr_sa_sdst(0)
	s_and_saveexec_b32 s6, s5
	s_cbranch_execz .LBB0_195
; %bb.194:
	.loc	1 0 21 is_stmt 0                ; matmul.py:0:21
	s_delay_alu instid0(VALU_DEP_1)
	.loc	1 39 52 is_stmt 1               ; matmul.py:39:52
	v_add_co_u32 v61, s5, v83, v71
	.loc	1 35 23                         ; matmul.py:35:23
	v_cvt_f16_f32_e32 v73, v62
	.loc	1 39 52                         ; matmul.py:39:52
	s_wait_alu depctr_va_sdst(0)
	v_add_co_ci_u32_e64 v62, null, v84, v72, s5
	.loc	1 41 21                         ; matmul.py:41:21
	global_store_b16 v[61:62], v73, off
.LBB0_195:
	.loc	1 0 21 is_stmt 0                ; matmul.py:0:21
	s_wait_alu depctr_sa_sdst(0)
	s_or_b32 exec_lo, exec_lo, s6
	.loc	1 23 38 is_stmt 1               ; matmul.py:23:38
	v_or_b32_e32 v73, 6, v81
	s_delay_alu instid0(VALU_DEP_1) | instskip(SKIP_3) | instid1(VALU_DEP_1)
	.loc	1 39 64                         ; matmul.py:39:64
	v_mul_lo_u32 v61, s23, v73
	.loc	1 40 58                         ; matmul.py:40:58
	v_cmp_gt_i32_e64 s5, s21, v73
	.loc	1 40 39 is_stmt 0               ; matmul.py:40:39
	s_and_b32 s6, s5, s15
	.loc	1 39 52 is_stmt 1               ; matmul.py:39:52
	v_ashrrev_i32_e32 v62, 31, v61
	v_lshlrev_b64_e32 v[61:62], 1, v[61:62]
	.loc	1 41 21                         ; matmul.py:41:21
	s_wait_alu depctr_sa_sdst(0)
	s_and_saveexec_b32 s7, s6
	s_cbranch_execz .LBB0_197
; %bb.196:
	.loc	1 0 21 is_stmt 0                ; matmul.py:0:21
	s_delay_alu instid0(VALU_DEP_1)
	.loc	1 39 52 is_stmt 1               ; matmul.py:39:52
	v_add_co_u32 v73, s6, v83, v61
	.loc	1 35 23                         ; matmul.py:35:23
	v_cvt_f16_f32_e32 v63, v63
	.loc	1 39 52                         ; matmul.py:39:52
	s_wait_alu depctr_va_sdst(0)
	v_add_co_ci_u32_e64 v74, null, v84, v62, s6
	.loc	1 41 21                         ; matmul.py:41:21
	global_store_b16 v[73:74], v63, off
.LBB0_197:
	.loc	1 0 21 is_stmt 0                ; matmul.py:0:21
	s_wait_alu depctr_sa_sdst(0)
	s_or_b32 exec_lo, exec_lo, s7
	.loc	1 23 38 is_stmt 1               ; matmul.py:23:38
	v_or_b32_e32 v63, 7, v81
	s_delay_alu instid0(VALU_DEP_1) | instskip(SKIP_3) | instid1(VALU_DEP_1)
	.loc	1 39 64                         ; matmul.py:39:64
	v_mul_lo_u32 v73, s23, v63
	.loc	1 40 58                         ; matmul.py:40:58
	v_cmp_gt_i32_e64 s6, s21, v63
	.loc	1 40 39 is_stmt 0               ; matmul.py:40:39
	s_and_b32 s7, s6, s15
	.loc	1 39 52 is_stmt 1               ; matmul.py:39:52
	v_ashrrev_i32_e32 v74, 31, v73
	v_lshlrev_b64_e32 v[73:74], 1, v[73:74]
	.loc	1 41 21                         ; matmul.py:41:21
	s_wait_alu depctr_sa_sdst(0)
	s_and_saveexec_b32 s8, s7
	s_cbranch_execz .LBB0_199
; %bb.198:
	.loc	1 0 21 is_stmt 0                ; matmul.py:0:21
	s_delay_alu instid0(VALU_DEP_1)
	.loc	1 39 52 is_stmt 1               ; matmul.py:39:52
	v_add_co_u32 v63, s7, v83, v73
	.loc	1 35 23                         ; matmul.py:35:23
	v_cvt_f16_f32_e32 v75, v64
	.loc	1 39 52                         ; matmul.py:39:52
	s_wait_alu depctr_va_sdst(0)
	v_add_co_ci_u32_e64 v64, null, v84, v74, s7
	.loc	1 41 21                         ; matmul.py:41:21
	global_store_b16 v[63:64], v75, off
.LBB0_199:
	.loc	1 0 21 is_stmt 0                ; matmul.py:0:21
	s_wait_alu depctr_sa_sdst(0)
	s_or_b32 exec_lo, exec_lo, s8
	.loc	1 23 38 is_stmt 1               ; matmul.py:23:38
	v_or_b32_e32 v75, 64, v81
	s_delay_alu instid0(VALU_DEP_1) | instskip(SKIP_3) | instid1(VALU_DEP_1)
	.loc	1 39 64                         ; matmul.py:39:64
	v_mul_lo_u32 v63, s23, v75
	.loc	1 40 58                         ; matmul.py:40:58
	v_cmp_gt_i32_e64 s7, s21, v75
	.loc	1 40 39 is_stmt 0               ; matmul.py:40:39
	s_and_b32 s8, s7, s15
	.loc	1 39 52 is_stmt 1               ; matmul.py:39:52
	v_ashrrev_i32_e32 v64, 31, v63
	v_lshlrev_b64_e32 v[63:64], 1, v[63:64]
	.loc	1 41 21                         ; matmul.py:41:21
	s_wait_alu depctr_sa_sdst(0)
	s_and_saveexec_b32 s9, s8
	s_cbranch_execz .LBB0_201
; %bb.200:
	.loc	1 0 21 is_stmt 0                ; matmul.py:0:21
	s_delay_alu instid0(VALU_DEP_1)
	.loc	1 39 52 is_stmt 1               ; matmul.py:39:52
	v_add_co_u32 v75, s8, v83, v63
	.loc	1 35 23                         ; matmul.py:35:23
	v_cvt_f16_f32_e32 v49, v49
	.loc	1 39 52                         ; matmul.py:39:52
	s_wait_alu depctr_va_sdst(0)
	v_add_co_ci_u32_e64 v76, null, v84, v64, s8
	.loc	1 41 21                         ; matmul.py:41:21
	global_store_b16 v[75:76], v49, off
.LBB0_201:
	.loc	1 0 21 is_stmt 0                ; matmul.py:0:21
	s_wait_alu depctr_sa_sdst(0)
	s_or_b32 exec_lo, exec_lo, s9
	.loc	1 23 38 is_stmt 1               ; matmul.py:23:38
	v_or_b32_e32 v49, 0x41, v81
	s_delay_alu instid0(VALU_DEP_1) | instskip(SKIP_3) | instid1(VALU_DEP_1)
	.loc	1 39 64                         ; matmul.py:39:64
	v_mul_lo_u32 v75, s23, v49
	.loc	1 40 58                         ; matmul.py:40:58
	v_cmp_gt_i32_e64 s8, s21, v49
	.loc	1 40 39 is_stmt 0               ; matmul.py:40:39
	s_and_b32 s9, s8, s15
	.loc	1 39 52 is_stmt 1               ; matmul.py:39:52
	v_ashrrev_i32_e32 v76, 31, v75
	v_lshlrev_b64_e32 v[75:76], 1, v[75:76]
	.loc	1 41 21                         ; matmul.py:41:21
	s_wait_alu depctr_sa_sdst(0)
	s_and_saveexec_b32 s10, s9
	s_cbranch_execz .LBB0_203
; %bb.202:
	.loc	1 0 21 is_stmt 0                ; matmul.py:0:21
	s_delay_alu instid0(VALU_DEP_1)
	.loc	1 39 52 is_stmt 1               ; matmul.py:39:52
	v_add_co_u32 v49, s9, v83, v75
	.loc	1 35 23                         ; matmul.py:35:23
	v_cvt_f16_f32_e32 v77, v50
	.loc	1 39 52                         ; matmul.py:39:52
	s_wait_alu depctr_va_sdst(0)
	v_add_co_ci_u32_e64 v50, null, v84, v76, s9
	.loc	1 41 21                         ; matmul.py:41:21
	global_store_b16 v[49:50], v77, off
.LBB0_203:
	.loc	1 0 21 is_stmt 0                ; matmul.py:0:21
	s_or_b32 exec_lo, exec_lo, s10
	.loc	1 23 38 is_stmt 1               ; matmul.py:23:38
	v_or_b32_e32 v77, 0x42, v81
	s_delay_alu instid0(VALU_DEP_1) | instskip(SKIP_3) | instid1(VALU_DEP_1)
	.loc	1 39 64                         ; matmul.py:39:64
	v_mul_lo_u32 v49, s23, v77
	.loc	1 40 58                         ; matmul.py:40:58
	v_cmp_gt_i32_e64 s9, s21, v77
	.loc	1 40 39 is_stmt 0               ; matmul.py:40:39
	s_and_b32 s10, s9, s15
	.loc	1 39 52 is_stmt 1               ; matmul.py:39:52
	v_ashrrev_i32_e32 v50, 31, v49
	v_lshlrev_b64_e32 v[49:50], 1, v[49:50]
	.loc	1 41 21                         ; matmul.py:41:21
	s_and_saveexec_b32 s11, s10
	s_cbranch_execz .LBB0_205
; %bb.204:
	.loc	1 0 21 is_stmt 0                ; matmul.py:0:21
	s_delay_alu instid0(VALU_DEP_1) | instskip(SKIP_1) | instid1(VALU_DEP_3)
	.loc	1 39 52 is_stmt 1               ; matmul.py:39:52
	v_add_co_u32 v77, s10, v83, v49
	.loc	1 35 23                         ; matmul.py:35:23
	v_cvt_f16_f32_e32 v51, v51
	.loc	1 39 52                         ; matmul.py:39:52
	v_add_co_ci_u32_e64 v78, null, v84, v50, s10
	.loc	1 41 21                         ; matmul.py:41:21
	global_store_b16 v[77:78], v51, off
.LBB0_205:
	.loc	1 0 21 is_stmt 0                ; matmul.py:0:21
	s_or_b32 exec_lo, exec_lo, s11
	.loc	1 23 38 is_stmt 1               ; matmul.py:23:38
	v_or_b32_e32 v51, 0x43, v81
	s_delay_alu instid0(VALU_DEP_1) | instskip(SKIP_3) | instid1(VALU_DEP_1)
	.loc	1 39 64                         ; matmul.py:39:64
	v_mul_lo_u32 v77, s23, v51
	.loc	1 40 58                         ; matmul.py:40:58
	v_cmp_gt_i32_e64 s10, s21, v51
	.loc	1 40 39 is_stmt 0               ; matmul.py:40:39
	s_and_b32 s11, s10, s15
	.loc	1 39 52 is_stmt 1               ; matmul.py:39:52
	v_ashrrev_i32_e32 v78, 31, v77
	v_lshlrev_b64_e32 v[77:78], 1, v[77:78]
	.loc	1 41 21                         ; matmul.py:41:21
	s_wait_alu depctr_sa_sdst(0)
	s_and_saveexec_b32 s12, s11
	s_cbranch_execz .LBB0_207
; %bb.206:
	.loc	1 0 21 is_stmt 0                ; matmul.py:0:21
	s_delay_alu instid0(VALU_DEP_1)
	.loc	1 39 52 is_stmt 1               ; matmul.py:39:52
	v_add_co_u32 v51, s11, v83, v77
	.loc	1 35 23                         ; matmul.py:35:23
	v_cvt_f16_f32_e32 v79, v52
	.loc	1 39 52                         ; matmul.py:39:52
	s_wait_alu depctr_va_sdst(0)
	v_add_co_ci_u32_e64 v52, null, v84, v78, s11
	.loc	1 41 21                         ; matmul.py:41:21
	global_store_b16 v[51:52], v79, off
.LBB0_207:
	.loc	1 0 21 is_stmt 0                ; matmul.py:0:21
	s_wait_alu depctr_sa_sdst(0)
	s_or_b32 exec_lo, exec_lo, s12
	.loc	1 23 38 is_stmt 1               ; matmul.py:23:38
	v_or_b32_e32 v79, 0x44, v81
	s_delay_alu instid0(VALU_DEP_1) | instskip(SKIP_3) | instid1(VALU_DEP_1)
	.loc	1 39 64                         ; matmul.py:39:64
	v_mul_lo_u32 v51, s23, v79
	.loc	1 40 58                         ; matmul.py:40:58
	v_cmp_gt_i32_e64 s11, s21, v79
	.loc	1 40 39 is_stmt 0               ; matmul.py:40:39
	s_and_b32 s12, s11, s15
	.loc	1 39 52 is_stmt 1               ; matmul.py:39:52
	v_ashrrev_i32_e32 v52, 31, v51
	v_lshlrev_b64_e32 v[51:52], 1, v[51:52]
	.loc	1 41 21                         ; matmul.py:41:21
	s_wait_alu depctr_sa_sdst(0)
	s_and_saveexec_b32 s13, s12
	s_cbranch_execz .LBB0_209
; %bb.208:
	.loc	1 0 21 is_stmt 0                ; matmul.py:0:21
	s_delay_alu instid0(VALU_DEP_1)
	.loc	1 39 52 is_stmt 1               ; matmul.py:39:52
	v_add_co_u32 v79, s12, v83, v51
	.loc	1 35 23                         ; matmul.py:35:23
	v_cvt_f16_f32_e32 v53, v53
	.loc	1 39 52                         ; matmul.py:39:52
	s_wait_alu depctr_va_sdst(0)
	v_add_co_ci_u32_e64 v80, null, v84, v52, s12
	.loc	1 41 21                         ; matmul.py:41:21
	global_store_b16 v[79:80], v53, off
.LBB0_209:
	.loc	1 0 21 is_stmt 0                ; matmul.py:0:21
	s_wait_alu depctr_sa_sdst(0)
	s_or_b32 exec_lo, exec_lo, s13
	.loc	1 23 38 is_stmt 1               ; matmul.py:23:38
	v_or_b32_e32 v53, 0x45, v81
	s_delay_alu instid0(VALU_DEP_1) | instskip(SKIP_3) | instid1(VALU_DEP_1)
	.loc	1 39 64                         ; matmul.py:39:64
	v_mul_lo_u32 v79, s23, v53
	.loc	1 40 58                         ; matmul.py:40:58
	v_cmp_gt_i32_e64 s12, s21, v53
	.loc	1 40 39 is_stmt 0               ; matmul.py:40:39
	s_and_b32 s13, s12, s15
	.loc	1 39 52 is_stmt 1               ; matmul.py:39:52
	v_ashrrev_i32_e32 v80, 31, v79
	v_lshlrev_b64_e32 v[79:80], 1, v[79:80]
	.loc	1 41 21                         ; matmul.py:41:21
	s_wait_alu depctr_sa_sdst(0)
	s_and_saveexec_b32 s14, s13
	s_cbranch_execz .LBB0_211
; %bb.210:
	.loc	1 0 21 is_stmt 0                ; matmul.py:0:21
	s_delay_alu instid0(VALU_DEP_1)
	.loc	1 39 52 is_stmt 1               ; matmul.py:39:52
	v_add_co_u32 v53, s13, v83, v79
	.loc	1 35 23                         ; matmul.py:35:23
	v_cvt_f16_f32_e32 v82, v54
	.loc	1 39 52                         ; matmul.py:39:52
	s_wait_alu depctr_va_sdst(0)
	v_add_co_ci_u32_e64 v54, null, v84, v80, s13
	.loc	1 41 21                         ; matmul.py:41:21
	global_store_b16 v[53:54], v82, off
.LBB0_211:
	.loc	1 0 21 is_stmt 0                ; matmul.py:0:21
	s_or_b32 exec_lo, exec_lo, s14
	.loc	1 23 38 is_stmt 1               ; matmul.py:23:38
	v_or_b32_e32 v82, 0x46, v81
	s_delay_alu instid0(VALU_DEP_1) | instskip(SKIP_3) | instid1(VALU_DEP_1)
	.loc	1 39 64                         ; matmul.py:39:64
	v_mul_lo_u32 v53, s23, v82
	.loc	1 40 58                         ; matmul.py:40:58
	v_cmp_gt_i32_e64 s13, s21, v82
	.loc	1 40 39 is_stmt 0               ; matmul.py:40:39
	s_and_b32 s14, s13, s15
	.loc	1 39 52 is_stmt 1               ; matmul.py:39:52
	v_ashrrev_i32_e32 v54, 31, v53
	v_lshlrev_b64_e32 v[53:54], 1, v[53:54]
	.loc	1 41 21                         ; matmul.py:41:21
	s_and_saveexec_b32 s16, s14
	s_cbranch_execz .LBB0_213
; %bb.212:
	.loc	1 0 21 is_stmt 0                ; matmul.py:0:21
	s_delay_alu instid0(VALU_DEP_1) | instskip(SKIP_1) | instid1(VALU_DEP_3)
	.loc	1 39 52 is_stmt 1               ; matmul.py:39:52
	v_add_co_u32 v85, s14, v83, v53
	.loc	1 35 23                         ; matmul.py:35:23
	v_cvt_f16_f32_e32 v55, v55
	.loc	1 39 52                         ; matmul.py:39:52
	v_add_co_ci_u32_e64 v86, null, v84, v54, s14
	.loc	1 41 21                         ; matmul.py:41:21
	global_store_b16 v[85:86], v55, off
.LBB0_213:
	.loc	1 0 21 is_stmt 0                ; matmul.py:0:21
	s_wait_alu depctr_sa_sdst(0)
	s_or_b32 exec_lo, exec_lo, s16
	.loc	1 23 38 is_stmt 1               ; matmul.py:23:38
	v_or_b32_e32 v55, 0x47, v81
	s_delay_alu instid0(VALU_DEP_1) | instskip(SKIP_3) | instid1(VALU_DEP_1)
	.loc	1 39 64                         ; matmul.py:39:64
	v_mul_lo_u32 v81, s23, v55
	.loc	1 40 58                         ; matmul.py:40:58
	v_cmp_gt_i32_e64 s14, s21, v55
	.loc	1 40 39 is_stmt 0               ; matmul.py:40:39
	s_and_b32 s15, s14, s15
	.loc	1 39 52 is_stmt 1               ; matmul.py:39:52
	v_ashrrev_i32_e32 v82, 31, v81
	v_lshlrev_b64_e32 v[81:82], 1, v[81:82]
	.loc	1 41 21                         ; matmul.py:41:21
	s_wait_alu depctr_sa_sdst(0)
	s_and_saveexec_b32 s16, s15
	s_cbranch_execz .LBB0_215
; %bb.214:
	.loc	1 0 21 is_stmt 0                ; matmul.py:0:21
	s_delay_alu instid0(VALU_DEP_1)
	.loc	1 39 52 is_stmt 1               ; matmul.py:39:52
	v_add_co_u32 v55, s15, v83, v81
	.loc	1 35 23                         ; matmul.py:35:23
	v_cvt_f16_f32_e32 v85, v56
	.loc	1 39 52                         ; matmul.py:39:52
	s_wait_alu depctr_va_sdst(0)
	v_add_co_ci_u32_e64 v56, null, v84, v82, s15
	.loc	1 41 21                         ; matmul.py:41:21
	global_store_b16 v[55:56], v85, off
.LBB0_215:
	.loc	1 0 21 is_stmt 0                ; matmul.py:0:21
	s_wait_alu depctr_sa_sdst(0)
	s_or_b32 exec_lo, exec_lo, s16
	.loc	1 22 38 is_stmt 1               ; matmul.py:22:38
	v_or_b32_e32 v83, 32, v0
	s_delay_alu instid0(VALU_DEP_1) | instskip(SKIP_1) | instid1(VALU_DEP_2)
	.loc	1 39 33                         ; matmul.py:39:33
	v_mul_lo_u32 v55, s22, v83
	.loc	1 40 33                         ; matmul.py:40:33
	v_cmp_gt_i32_e64 s15, s20, v83
	.loc	1 39 21                         ; matmul.py:39:21
	v_ashrrev_i32_e32 v56, 31, v55
	s_delay_alu instid0(VALU_DEP_1) | instskip(NEXT) | instid1(VALU_DEP_1)
	v_lshlrev_b64_e32 v[55:56], 1, v[55:56]
	v_add_co_u32 v55, s16, s18, v55
	s_wait_alu depctr_va_sdst(0)
	s_delay_alu instid0(VALU_DEP_2)
	v_add_co_ci_u32_e64 v56, null, s19, v56, s16
	.loc	1 40 39                         ; matmul.py:40:39
	s_and_b32 s16, s15, vcc_lo
	.loc	1 41 21                         ; matmul.py:41:21
	s_wait_alu depctr_sa_sdst(0)
	s_and_saveexec_b32 s17, s16
	s_cbranch_execnz .LBB0_266
; %bb.216:
	.loc	1 0 21 is_stmt 0                ; matmul.py:0:21
	s_wait_alu depctr_sa_sdst(0)
	s_or_b32 exec_lo, exec_lo, s17
	.loc	1 40 39 is_stmt 1               ; matmul.py:40:39
	s_and_b32 s16, s15, s0
	.loc	1 41 21                         ; matmul.py:41:21
	s_wait_alu depctr_sa_sdst(0)
	s_and_saveexec_b32 s17, s16
	s_cbranch_execnz .LBB0_267
.LBB0_217:
	.loc	1 0 21 is_stmt 0                ; matmul.py:0:21
	s_wait_alu depctr_sa_sdst(0)
	s_or_b32 exec_lo, exec_lo, s17
	.loc	1 40 39 is_stmt 1               ; matmul.py:40:39
	s_and_b32 s16, s15, s1
	.loc	1 41 21                         ; matmul.py:41:21
	s_wait_alu depctr_sa_sdst(0)
	s_and_saveexec_b32 s17, s16
	s_cbranch_execnz .LBB0_268
.LBB0_218:
	.loc	1 0 21 is_stmt 0                ; matmul.py:0:21
	s_wait_alu depctr_sa_sdst(0)
	s_or_b32 exec_lo, exec_lo, s17
	.loc	1 40 39 is_stmt 1               ; matmul.py:40:39
	s_and_b32 s16, s15, s2
	.loc	1 41 21                         ; matmul.py:41:21
	s_wait_alu depctr_sa_sdst(0)
	s_and_saveexec_b32 s17, s16
	s_cbranch_execnz .LBB0_269
.LBB0_219:
	.loc	1 0 21 is_stmt 0                ; matmul.py:0:21
	s_wait_alu depctr_sa_sdst(0)
	s_or_b32 exec_lo, exec_lo, s17
	.loc	1 40 39 is_stmt 1               ; matmul.py:40:39
	s_and_b32 s16, s15, s3
	.loc	1 41 21                         ; matmul.py:41:21
	s_wait_alu depctr_sa_sdst(0)
	s_and_saveexec_b32 s17, s16
	s_cbranch_execnz .LBB0_270
.LBB0_220:
	.loc	1 0 21 is_stmt 0                ; matmul.py:0:21
	s_wait_alu depctr_sa_sdst(0)
	s_or_b32 exec_lo, exec_lo, s17
	.loc	1 40 39 is_stmt 1               ; matmul.py:40:39
	s_and_b32 s16, s15, s4
	.loc	1 41 21                         ; matmul.py:41:21
	s_wait_alu depctr_sa_sdst(0)
	s_and_saveexec_b32 s17, s16
	s_cbranch_execnz .LBB0_271
.LBB0_221:
	.loc	1 0 21 is_stmt 0                ; matmul.py:0:21
	s_wait_alu depctr_sa_sdst(0)
	s_or_b32 exec_lo, exec_lo, s17
	.loc	1 40 39 is_stmt 1               ; matmul.py:40:39
	s_and_b32 s16, s15, s5
	.loc	1 41 21                         ; matmul.py:41:21
	s_wait_alu depctr_sa_sdst(0)
	s_and_saveexec_b32 s17, s16
	s_cbranch_execnz .LBB0_272
.LBB0_222:
	.loc	1 0 21 is_stmt 0                ; matmul.py:0:21
	s_wait_alu depctr_sa_sdst(0)
	s_or_b32 exec_lo, exec_lo, s17
	.loc	1 40 39 is_stmt 1               ; matmul.py:40:39
	s_and_b32 s16, s15, s6
	.loc	1 41 21                         ; matmul.py:41:21
	s_wait_alu depctr_sa_sdst(0)
	s_and_saveexec_b32 s17, s16
	s_cbranch_execnz .LBB0_273
.LBB0_223:
	.loc	1 0 21 is_stmt 0                ; matmul.py:0:21
	s_wait_alu depctr_sa_sdst(0)
	s_or_b32 exec_lo, exec_lo, s17
	.loc	1 40 39 is_stmt 1               ; matmul.py:40:39
	s_and_b32 s16, s15, s7
	.loc	1 41 21                         ; matmul.py:41:21
	s_wait_alu depctr_sa_sdst(0)
	s_and_saveexec_b32 s17, s16
	s_cbranch_execnz .LBB0_274
.LBB0_224:
	.loc	1 0 21 is_stmt 0                ; matmul.py:0:21
	s_wait_alu depctr_sa_sdst(0)
	s_or_b32 exec_lo, exec_lo, s17
	.loc	1 40 39 is_stmt 1               ; matmul.py:40:39
	s_and_b32 s16, s15, s8
	.loc	1 41 21                         ; matmul.py:41:21
	s_wait_alu depctr_sa_sdst(0)
	s_and_saveexec_b32 s17, s16
	s_cbranch_execnz .LBB0_275
.LBB0_225:
	.loc	1 0 21 is_stmt 0                ; matmul.py:0:21
	s_wait_alu depctr_sa_sdst(0)
	s_or_b32 exec_lo, exec_lo, s17
	.loc	1 40 39 is_stmt 1               ; matmul.py:40:39
	s_and_b32 s16, s15, s9
	.loc	1 41 21                         ; matmul.py:41:21
	s_wait_alu depctr_sa_sdst(0)
	s_and_saveexec_b32 s17, s16
	s_cbranch_execnz .LBB0_276
.LBB0_226:
	.loc	1 0 21 is_stmt 0                ; matmul.py:0:21
	s_wait_alu depctr_sa_sdst(0)
	s_or_b32 exec_lo, exec_lo, s17
	.loc	1 40 39 is_stmt 1               ; matmul.py:40:39
	s_and_b32 s16, s15, s10
	.loc	1 41 21                         ; matmul.py:41:21
	s_wait_alu depctr_sa_sdst(0)
	s_and_saveexec_b32 s17, s16
	s_cbranch_execnz .LBB0_277
.LBB0_227:
	.loc	1 0 21 is_stmt 0                ; matmul.py:0:21
	s_wait_alu depctr_sa_sdst(0)
	s_or_b32 exec_lo, exec_lo, s17
	.loc	1 40 39 is_stmt 1               ; matmul.py:40:39
	s_and_b32 s16, s15, s11
	.loc	1 41 21                         ; matmul.py:41:21
	s_wait_alu depctr_sa_sdst(0)
	s_and_saveexec_b32 s17, s16
	s_cbranch_execnz .LBB0_278
.LBB0_228:
	.loc	1 0 21 is_stmt 0                ; matmul.py:0:21
	s_wait_alu depctr_sa_sdst(0)
	s_or_b32 exec_lo, exec_lo, s17
	.loc	1 40 39 is_stmt 1               ; matmul.py:40:39
	s_and_b32 s16, s15, s12
	.loc	1 41 21                         ; matmul.py:41:21
	s_wait_alu depctr_sa_sdst(0)
	s_and_saveexec_b32 s17, s16
	s_cbranch_execnz .LBB0_279
.LBB0_229:
	.loc	1 0 21 is_stmt 0                ; matmul.py:0:21
	s_wait_alu depctr_sa_sdst(0)
	s_or_b32 exec_lo, exec_lo, s17
	.loc	1 40 39 is_stmt 1               ; matmul.py:40:39
	s_and_b32 s16, s15, s13
	.loc	1 41 21                         ; matmul.py:41:21
	s_wait_alu depctr_sa_sdst(0)
	s_and_saveexec_b32 s17, s16
	s_cbranch_execnz .LBB0_280
.LBB0_230:
	.loc	1 0 21 is_stmt 0                ; matmul.py:0:21
	s_wait_alu depctr_sa_sdst(0)
	s_or_b32 exec_lo, exec_lo, s17
	.loc	1 40 39 is_stmt 1               ; matmul.py:40:39
	s_and_b32 s15, s15, s14
	.loc	1 41 21                         ; matmul.py:41:21
	s_wait_alu depctr_sa_sdst(0)
	s_and_saveexec_b32 s16, s15
	s_cbranch_execz .LBB0_232
.LBB0_231:
	.loc	1 39 52                         ; matmul.py:39:52
	v_add_co_u32 v33, s15, v55, v81
	.loc	1 35 23                         ; matmul.py:35:23
	v_cvt_f16_f32_e32 v35, v40
	.loc	1 39 52                         ; matmul.py:39:52
	s_wait_alu depctr_va_sdst(0)
	v_add_co_ci_u32_e64 v34, null, v56, v82, s15
	.loc	1 41 21                         ; matmul.py:41:21
	global_store_b16 v[33:34], v35, off
.LBB0_232:
	.loc	1 0 21 is_stmt 0                ; matmul.py:0:21
	s_wait_alu depctr_sa_sdst(0)
	s_or_b32 exec_lo, exec_lo, s16
	.loc	1 22 38 is_stmt 1               ; matmul.py:22:38
	v_or_b32_e32 v35, 64, v0
	s_delay_alu instid0(VALU_DEP_1) | instskip(SKIP_1) | instid1(VALU_DEP_2)
	.loc	1 39 33                         ; matmul.py:39:33
	v_mul_lo_u32 v33, s22, v35
	.loc	1 40 33                         ; matmul.py:40:33
	v_cmp_gt_i32_e64 s15, s20, v35
	.loc	1 39 21                         ; matmul.py:39:21
	v_ashrrev_i32_e32 v34, 31, v33
	s_delay_alu instid0(VALU_DEP_1) | instskip(NEXT) | instid1(VALU_DEP_1)
	v_lshlrev_b64_e32 v[33:34], 1, v[33:34]
	v_add_co_u32 v33, s16, s18, v33
	s_wait_alu depctr_va_sdst(0)
	s_delay_alu instid0(VALU_DEP_2)
	v_add_co_ci_u32_e64 v34, null, s19, v34, s16
	.loc	1 40 39                         ; matmul.py:40:39
	s_and_b32 s16, s15, vcc_lo
	.loc	1 41 21                         ; matmul.py:41:21
	s_wait_alu depctr_sa_sdst(0)
	s_and_saveexec_b32 s17, s16
	s_cbranch_execnz .LBB0_281
; %bb.233:
	.loc	1 0 21 is_stmt 0                ; matmul.py:0:21
	s_wait_alu depctr_sa_sdst(0)
	s_or_b32 exec_lo, exec_lo, s17
	.loc	1 40 39 is_stmt 1               ; matmul.py:40:39
	s_and_b32 s16, s15, s0
	.loc	1 41 21                         ; matmul.py:41:21
	s_wait_alu depctr_sa_sdst(0)
	s_and_saveexec_b32 s17, s16
	s_cbranch_execnz .LBB0_282
.LBB0_234:
	.loc	1 0 21 is_stmt 0                ; matmul.py:0:21
	s_wait_alu depctr_sa_sdst(0)
	s_or_b32 exec_lo, exec_lo, s17
	.loc	1 40 39 is_stmt 1               ; matmul.py:40:39
	s_and_b32 s16, s15, s1
	.loc	1 41 21                         ; matmul.py:41:21
	s_wait_alu depctr_sa_sdst(0)
	s_and_saveexec_b32 s17, s16
	s_cbranch_execnz .LBB0_283
.LBB0_235:
	.loc	1 0 21 is_stmt 0                ; matmul.py:0:21
	s_wait_alu depctr_sa_sdst(0)
	s_or_b32 exec_lo, exec_lo, s17
	.loc	1 40 39 is_stmt 1               ; matmul.py:40:39
	s_and_b32 s16, s15, s2
	.loc	1 41 21                         ; matmul.py:41:21
	s_wait_alu depctr_sa_sdst(0)
	s_and_saveexec_b32 s17, s16
	s_cbranch_execnz .LBB0_284
.LBB0_236:
	.loc	1 0 21 is_stmt 0                ; matmul.py:0:21
	s_wait_alu depctr_sa_sdst(0)
	s_or_b32 exec_lo, exec_lo, s17
	.loc	1 40 39 is_stmt 1               ; matmul.py:40:39
	s_and_b32 s16, s15, s3
	.loc	1 41 21                         ; matmul.py:41:21
	s_wait_alu depctr_sa_sdst(0)
	s_and_saveexec_b32 s17, s16
	s_cbranch_execnz .LBB0_285
.LBB0_237:
	.loc	1 0 21 is_stmt 0                ; matmul.py:0:21
	s_wait_alu depctr_sa_sdst(0)
	s_or_b32 exec_lo, exec_lo, s17
	.loc	1 40 39 is_stmt 1               ; matmul.py:40:39
	s_and_b32 s16, s15, s4
	.loc	1 41 21                         ; matmul.py:41:21
	s_wait_alu depctr_sa_sdst(0)
	s_and_saveexec_b32 s17, s16
	s_cbranch_execnz .LBB0_286
.LBB0_238:
	.loc	1 0 21 is_stmt 0                ; matmul.py:0:21
	s_wait_alu depctr_sa_sdst(0)
	s_or_b32 exec_lo, exec_lo, s17
	.loc	1 40 39 is_stmt 1               ; matmul.py:40:39
	s_and_b32 s16, s15, s5
	.loc	1 41 21                         ; matmul.py:41:21
	s_wait_alu depctr_sa_sdst(0)
	s_and_saveexec_b32 s17, s16
	s_cbranch_execnz .LBB0_287
.LBB0_239:
	.loc	1 0 21 is_stmt 0                ; matmul.py:0:21
	s_wait_alu depctr_sa_sdst(0)
	s_or_b32 exec_lo, exec_lo, s17
	.loc	1 40 39 is_stmt 1               ; matmul.py:40:39
	s_and_b32 s16, s15, s6
	.loc	1 41 21                         ; matmul.py:41:21
	s_wait_alu depctr_sa_sdst(0)
	s_and_saveexec_b32 s17, s16
	s_cbranch_execnz .LBB0_288
.LBB0_240:
	.loc	1 0 21 is_stmt 0                ; matmul.py:0:21
	s_wait_alu depctr_sa_sdst(0)
	s_or_b32 exec_lo, exec_lo, s17
	.loc	1 40 39 is_stmt 1               ; matmul.py:40:39
	s_and_b32 s16, s15, s7
	.loc	1 41 21                         ; matmul.py:41:21
	s_wait_alu depctr_sa_sdst(0)
	s_and_saveexec_b32 s17, s16
	s_cbranch_execnz .LBB0_289
.LBB0_241:
	.loc	1 0 21 is_stmt 0                ; matmul.py:0:21
	s_wait_alu depctr_sa_sdst(0)
	s_or_b32 exec_lo, exec_lo, s17
	.loc	1 40 39 is_stmt 1               ; matmul.py:40:39
	s_and_b32 s16, s15, s8
	.loc	1 41 21                         ; matmul.py:41:21
	s_wait_alu depctr_sa_sdst(0)
	s_and_saveexec_b32 s17, s16
	s_cbranch_execnz .LBB0_290
.LBB0_242:
	.loc	1 0 21 is_stmt 0                ; matmul.py:0:21
	s_wait_alu depctr_sa_sdst(0)
	s_or_b32 exec_lo, exec_lo, s17
	.loc	1 40 39 is_stmt 1               ; matmul.py:40:39
	s_and_b32 s16, s15, s9
	.loc	1 41 21                         ; matmul.py:41:21
	s_wait_alu depctr_sa_sdst(0)
	s_and_saveexec_b32 s17, s16
	s_cbranch_execnz .LBB0_291
.LBB0_243:
	.loc	1 0 21 is_stmt 0                ; matmul.py:0:21
	s_wait_alu depctr_sa_sdst(0)
	s_or_b32 exec_lo, exec_lo, s17
	.loc	1 40 39 is_stmt 1               ; matmul.py:40:39
	s_and_b32 s16, s15, s10
	.loc	1 41 21                         ; matmul.py:41:21
	s_wait_alu depctr_sa_sdst(0)
	s_and_saveexec_b32 s17, s16
	s_cbranch_execnz .LBB0_292
.LBB0_244:
	.loc	1 0 21 is_stmt 0                ; matmul.py:0:21
	s_wait_alu depctr_sa_sdst(0)
	s_or_b32 exec_lo, exec_lo, s17
	.loc	1 40 39 is_stmt 1               ; matmul.py:40:39
	s_and_b32 s16, s15, s11
	.loc	1 41 21                         ; matmul.py:41:21
	s_wait_alu depctr_sa_sdst(0)
	s_and_saveexec_b32 s17, s16
	s_cbranch_execnz .LBB0_293
.LBB0_245:
	.loc	1 0 21 is_stmt 0                ; matmul.py:0:21
	s_wait_alu depctr_sa_sdst(0)
	s_or_b32 exec_lo, exec_lo, s17
	.loc	1 40 39 is_stmt 1               ; matmul.py:40:39
	s_and_b32 s16, s15, s12
	.loc	1 41 21                         ; matmul.py:41:21
	s_wait_alu depctr_sa_sdst(0)
	s_and_saveexec_b32 s17, s16
	s_cbranch_execnz .LBB0_294
.LBB0_246:
	.loc	1 0 21 is_stmt 0                ; matmul.py:0:21
	s_wait_alu depctr_sa_sdst(0)
	s_or_b32 exec_lo, exec_lo, s17
	.loc	1 40 39 is_stmt 1               ; matmul.py:40:39
	s_and_b32 s16, s15, s13
	.loc	1 41 21                         ; matmul.py:41:21
	s_wait_alu depctr_sa_sdst(0)
	s_and_saveexec_b32 s17, s16
	s_cbranch_execnz .LBB0_295
.LBB0_247:
	.loc	1 0 21 is_stmt 0                ; matmul.py:0:21
	s_wait_alu depctr_sa_sdst(0)
	s_or_b32 exec_lo, exec_lo, s17
	.loc	1 40 39 is_stmt 1               ; matmul.py:40:39
	s_and_b32 s15, s15, s14
	.loc	1 41 21                         ; matmul.py:41:21
	s_wait_alu depctr_sa_sdst(0)
	s_and_saveexec_b32 s16, s15
	s_cbranch_execz .LBB0_249
.LBB0_248:
	.loc	1 39 52                         ; matmul.py:39:52
	v_add_co_u32 v17, s15, v33, v81
	.loc	1 35 23                         ; matmul.py:35:23
	v_cvt_f16_f32_e32 v19, v24
	.loc	1 39 52                         ; matmul.py:39:52
	s_wait_alu depctr_va_sdst(0)
	v_add_co_ci_u32_e64 v18, null, v34, v82, s15
	.loc	1 41 21                         ; matmul.py:41:21
	global_store_b16 v[17:18], v19, off
.LBB0_249:
	.loc	1 0 21 is_stmt 0                ; matmul.py:0:21
	s_wait_alu depctr_sa_sdst(0)
	s_or_b32 exec_lo, exec_lo, s16
	.loc	1 22 38 is_stmt 1               ; matmul.py:22:38
	v_or_b32_e32 v0, 0x60, v0
	s_delay_alu instid0(VALU_DEP_1) | instskip(SKIP_3) | instid1(VALU_DEP_1)
	.loc	1 39 33                         ; matmul.py:39:33
	v_mul_lo_u32 v17, s22, v0
	.loc	1 40 33                         ; matmul.py:40:33
	v_cmp_gt_i32_e64 s15, s20, v0
	.loc	1 40 39 is_stmt 0               ; matmul.py:40:39
	s_and_b32 s17, s15, vcc_lo
	.loc	1 39 21 is_stmt 1               ; matmul.py:39:21
	v_ashrrev_i32_e32 v18, 31, v17
	v_lshlrev_b64_e32 v[17:18], 1, v[17:18]
	s_delay_alu instid0(VALU_DEP_1) | instskip(SKIP_1) | instid1(VALU_DEP_2)
	v_add_co_u32 v0, s16, s18, v17
	s_wait_alu depctr_va_sdst(0)
	v_add_co_ci_u32_e64 v17, null, s19, v18, s16
	.loc	1 41 21                         ; matmul.py:41:21
	s_wait_alu depctr_sa_sdst(0)
	s_and_saveexec_b32 s16, s17
	s_cbranch_execnz .LBB0_296
; %bb.250:
	.loc	1 0 21 is_stmt 0                ; matmul.py:0:21
	s_wait_alu depctr_sa_sdst(0)
	s_or_b32 exec_lo, exec_lo, s16
	.loc	1 40 39 is_stmt 1               ; matmul.py:40:39
	s_and_b32 s16, s15, s0
	.loc	1 41 21                         ; matmul.py:41:21
	s_wait_alu depctr_sa_sdst(0)
	s_and_saveexec_b32 s0, s16
	s_cbranch_execnz .LBB0_297
.LBB0_251:
	.loc	1 0 21 is_stmt 0                ; matmul.py:0:21
	s_wait_alu depctr_sa_sdst(0)
	s_or_b32 exec_lo, exec_lo, s0
	.loc	1 40 39 is_stmt 1               ; matmul.py:40:39
	s_and_b32 s1, s15, s1
	.loc	1 41 21                         ; matmul.py:41:21
	s_wait_alu depctr_sa_sdst(0)
	s_and_saveexec_b32 s0, s1
	s_cbranch_execnz .LBB0_298
.LBB0_252:
	.loc	1 0 21 is_stmt 0                ; matmul.py:0:21
	s_wait_alu depctr_sa_sdst(0)
	s_or_b32 exec_lo, exec_lo, s0
	.loc	1 40 39 is_stmt 1               ; matmul.py:40:39
	s_and_b32 s1, s15, s2
	.loc	1 41 21                         ; matmul.py:41:21
	s_wait_alu depctr_sa_sdst(0)
	s_and_saveexec_b32 s0, s1
	s_cbranch_execnz .LBB0_299
.LBB0_253:
	.loc	1 0 21 is_stmt 0                ; matmul.py:0:21
	s_wait_alu depctr_sa_sdst(0)
	s_or_b32 exec_lo, exec_lo, s0
	.loc	1 40 39 is_stmt 1               ; matmul.py:40:39
	s_and_b32 s1, s15, s3
	.loc	1 41 21                         ; matmul.py:41:21
	s_wait_alu depctr_sa_sdst(0)
	s_and_saveexec_b32 s0, s1
	s_cbranch_execnz .LBB0_300
.LBB0_254:
	.loc	1 0 21 is_stmt 0                ; matmul.py:0:21
	s_wait_alu depctr_sa_sdst(0)
	s_or_b32 exec_lo, exec_lo, s0
	.loc	1 40 39 is_stmt 1               ; matmul.py:40:39
	s_and_b32 s1, s15, s4
	.loc	1 41 21                         ; matmul.py:41:21
	s_wait_alu depctr_sa_sdst(0)
	s_and_saveexec_b32 s0, s1
	s_cbranch_execnz .LBB0_301
.LBB0_255:
	.loc	1 0 21 is_stmt 0                ; matmul.py:0:21
	s_wait_alu depctr_sa_sdst(0)
	s_or_b32 exec_lo, exec_lo, s0
	.loc	1 40 39 is_stmt 1               ; matmul.py:40:39
	s_and_b32 s1, s15, s5
	.loc	1 41 21                         ; matmul.py:41:21
	s_wait_alu depctr_sa_sdst(0)
	s_and_saveexec_b32 s0, s1
	s_cbranch_execnz .LBB0_302
.LBB0_256:
	.loc	1 0 21 is_stmt 0                ; matmul.py:0:21
	s_wait_alu depctr_sa_sdst(0)
	s_or_b32 exec_lo, exec_lo, s0
	.loc	1 40 39 is_stmt 1               ; matmul.py:40:39
	s_and_b32 s1, s15, s6
	.loc	1 41 21                         ; matmul.py:41:21
	s_wait_alu depctr_sa_sdst(0)
	s_and_saveexec_b32 s0, s1
	s_cbranch_execnz .LBB0_303
.LBB0_257:
	.loc	1 0 21 is_stmt 0                ; matmul.py:0:21
	s_wait_alu depctr_sa_sdst(0)
	s_or_b32 exec_lo, exec_lo, s0
	.loc	1 40 39 is_stmt 1               ; matmul.py:40:39
	s_and_b32 s1, s15, s7
	.loc	1 41 21                         ; matmul.py:41:21
	s_wait_alu depctr_sa_sdst(0)
	s_and_saveexec_b32 s0, s1
	s_cbranch_execnz .LBB0_304
.LBB0_258:
	.loc	1 0 21 is_stmt 0                ; matmul.py:0:21
	s_wait_alu depctr_sa_sdst(0)
	s_or_b32 exec_lo, exec_lo, s0
	.loc	1 40 39 is_stmt 1               ; matmul.py:40:39
	s_and_b32 s1, s15, s8
	.loc	1 41 21                         ; matmul.py:41:21
	s_wait_alu depctr_sa_sdst(0)
	s_and_saveexec_b32 s0, s1
	s_cbranch_execnz .LBB0_305
.LBB0_259:
	.loc	1 0 21 is_stmt 0                ; matmul.py:0:21
	s_wait_alu depctr_sa_sdst(0)
	s_or_b32 exec_lo, exec_lo, s0
	.loc	1 40 39 is_stmt 1               ; matmul.py:40:39
	s_and_b32 s1, s15, s9
	.loc	1 41 21                         ; matmul.py:41:21
	s_wait_alu depctr_sa_sdst(0)
	s_and_saveexec_b32 s0, s1
	s_cbranch_execnz .LBB0_306
.LBB0_260:
	.loc	1 0 21 is_stmt 0                ; matmul.py:0:21
	s_wait_alu depctr_sa_sdst(0)
	s_or_b32 exec_lo, exec_lo, s0
	.loc	1 40 39 is_stmt 1               ; matmul.py:40:39
	s_and_b32 s1, s15, s10
	.loc	1 41 21                         ; matmul.py:41:21
	s_wait_alu depctr_sa_sdst(0)
	s_and_saveexec_b32 s0, s1
	s_cbranch_execnz .LBB0_307
.LBB0_261:
	.loc	1 0 21 is_stmt 0                ; matmul.py:0:21
	s_wait_alu depctr_sa_sdst(0)
	s_or_b32 exec_lo, exec_lo, s0
	.loc	1 40 39 is_stmt 1               ; matmul.py:40:39
	s_and_b32 s1, s15, s11
	.loc	1 41 21                         ; matmul.py:41:21
	s_wait_alu depctr_sa_sdst(0)
	s_and_saveexec_b32 s0, s1
	s_cbranch_execnz .LBB0_308
.LBB0_262:
	.loc	1 0 21 is_stmt 0                ; matmul.py:0:21
	s_wait_alu depctr_sa_sdst(0)
	s_or_b32 exec_lo, exec_lo, s0
	.loc	1 40 39 is_stmt 1               ; matmul.py:40:39
	s_and_b32 s1, s15, s12
	.loc	1 41 21                         ; matmul.py:41:21
	s_wait_alu depctr_sa_sdst(0)
	s_and_saveexec_b32 s0, s1
	s_cbranch_execnz .LBB0_309
.LBB0_263:
	.loc	1 0 21 is_stmt 0                ; matmul.py:0:21
	s_wait_alu depctr_sa_sdst(0)
	s_or_b32 exec_lo, exec_lo, s0
	.loc	1 40 39 is_stmt 1               ; matmul.py:40:39
	s_and_b32 s1, s15, s13
	.loc	1 41 21                         ; matmul.py:41:21
	s_wait_alu depctr_sa_sdst(0)
	s_and_saveexec_b32 s0, s1
	s_cbranch_execnz .LBB0_310
.LBB0_264:
	.loc	1 0 21 is_stmt 0                ; matmul.py:0:21
	s_wait_alu depctr_sa_sdst(0)
	s_or_b32 exec_lo, exec_lo, s0
	.loc	1 40 39 is_stmt 1               ; matmul.py:40:39
	s_and_b32 s0, s15, s14
	.loc	1 41 21                         ; matmul.py:41:21
	s_wait_alu depctr_sa_sdst(0)
	s_and_saveexec_b32 s1, s0
	s_cbranch_execnz .LBB0_311
.LBB0_265:
	.loc	1 41 4 is_stmt 0                ; matmul.py:41:4
	s_nop 0
	s_sendmsg sendmsg(MSG_DEALLOC_VGPRS)
	s_endpgm
.LBB0_266:
	.loc	1 39 52 is_stmt 1               ; matmul.py:39:52
	v_add_co_u32 v83, s16, v55, v65
	.loc	1 35 23                         ; matmul.py:35:23
	v_cvt_f16_f32_e32 v41, v41
	.loc	1 39 52                         ; matmul.py:39:52
	s_wait_alu depctr_va_sdst(0)
	v_add_co_ci_u32_e64 v84, null, v56, v66, s16
	.loc	1 41 21                         ; matmul.py:41:21
	global_store_b16 v[83:84], v41, off
	s_wait_alu depctr_sa_sdst(0)
	s_or_b32 exec_lo, exec_lo, s17
	.loc	1 40 39                         ; matmul.py:40:39
	s_and_b32 s16, s15, s0
	.loc	1 41 21                         ; matmul.py:41:21
	s_wait_alu depctr_sa_sdst(0)
	s_and_saveexec_b32 s17, s16
	s_cbranch_execz .LBB0_217
.LBB0_267:
	.loc	1 39 52                         ; matmul.py:39:52
	v_add_co_u32 v41, s16, v55, v67
	.loc	1 35 23                         ; matmul.py:35:23
	v_cvt_f16_f32_e32 v83, v42
	.loc	1 39 52                         ; matmul.py:39:52
	s_wait_alu depctr_va_sdst(0)
	v_add_co_ci_u32_e64 v42, null, v56, v68, s16
	.loc	1 41 21                         ; matmul.py:41:21
	global_store_b16 v[41:42], v83, off
	s_wait_alu depctr_sa_sdst(0)
	s_or_b32 exec_lo, exec_lo, s17
	.loc	1 40 39                         ; matmul.py:40:39
	s_and_b32 s16, s15, s1
	.loc	1 41 21                         ; matmul.py:41:21
	s_wait_alu depctr_sa_sdst(0)
	s_and_saveexec_b32 s17, s16
	s_cbranch_execz .LBB0_218
.LBB0_268:
	.loc	1 39 52                         ; matmul.py:39:52
	v_add_co_u32 v41, s16, v55, v57
	.loc	1 35 23                         ; matmul.py:35:23
	v_cvt_f16_f32_e32 v43, v43
	.loc	1 39 52                         ; matmul.py:39:52
	s_wait_alu depctr_va_sdst(0)
	v_add_co_ci_u32_e64 v42, null, v56, v58, s16
	.loc	1 41 21                         ; matmul.py:41:21
	global_store_b16 v[41:42], v43, off
	s_wait_alu depctr_sa_sdst(0)
	s_or_b32 exec_lo, exec_lo, s17
	.loc	1 40 39                         ; matmul.py:40:39
	s_and_b32 s16, s15, s2
	.loc	1 41 21                         ; matmul.py:41:21
	s_wait_alu depctr_sa_sdst(0)
	s_and_saveexec_b32 s17, s16
	s_cbranch_execz .LBB0_219
.LBB0_269:
	.loc	1 39 52                         ; matmul.py:39:52
	v_add_co_u32 v41, s16, v55, v69
	.loc	1 35 23                         ; matmul.py:35:23
	v_cvt_f16_f32_e32 v43, v44
	.loc	1 39 52                         ; matmul.py:39:52
	s_wait_alu depctr_va_sdst(0)
	v_add_co_ci_u32_e64 v42, null, v56, v70, s16
	.loc	1 41 21                         ; matmul.py:41:21
	global_store_b16 v[41:42], v43, off
	s_wait_alu depctr_sa_sdst(0)
	s_or_b32 exec_lo, exec_lo, s17
	.loc	1 40 39                         ; matmul.py:40:39
	s_and_b32 s16, s15, s3
	.loc	1 41 21                         ; matmul.py:41:21
	s_wait_alu depctr_sa_sdst(0)
	s_and_saveexec_b32 s17, s16
	s_cbranch_execz .LBB0_220
.LBB0_270:
	.loc	1 39 52                         ; matmul.py:39:52
	v_add_co_u32 v41, s16, v55, v59
	.loc	1 35 23                         ; matmul.py:35:23
	v_cvt_f16_f32_e32 v43, v45
	.loc	1 39 52                         ; matmul.py:39:52
	s_wait_alu depctr_va_sdst(0)
	v_add_co_ci_u32_e64 v42, null, v56, v60, s16
	.loc	1 41 21                         ; matmul.py:41:21
	global_store_b16 v[41:42], v43, off
	s_wait_alu depctr_sa_sdst(0)
	s_or_b32 exec_lo, exec_lo, s17
	.loc	1 40 39                         ; matmul.py:40:39
	s_and_b32 s16, s15, s4
	.loc	1 41 21                         ; matmul.py:41:21
	s_wait_alu depctr_sa_sdst(0)
	s_and_saveexec_b32 s17, s16
	s_cbranch_execz .LBB0_221
.LBB0_271:
	.loc	1 39 52                         ; matmul.py:39:52
	v_add_co_u32 v41, s16, v55, v71
	.loc	1 35 23                         ; matmul.py:35:23
	v_cvt_f16_f32_e32 v43, v46
	.loc	1 39 52                         ; matmul.py:39:52
	s_wait_alu depctr_va_sdst(0)
	v_add_co_ci_u32_e64 v42, null, v56, v72, s16
	.loc	1 41 21                         ; matmul.py:41:21
	global_store_b16 v[41:42], v43, off
	s_wait_alu depctr_sa_sdst(0)
	s_or_b32 exec_lo, exec_lo, s17
	.loc	1 40 39                         ; matmul.py:40:39
	s_and_b32 s16, s15, s5
	.loc	1 41 21                         ; matmul.py:41:21
	s_wait_alu depctr_sa_sdst(0)
	s_and_saveexec_b32 s17, s16
	s_cbranch_execz .LBB0_222
.LBB0_272:
	.loc	1 39 52                         ; matmul.py:39:52
	v_add_co_u32 v41, s16, v55, v61
	.loc	1 35 23                         ; matmul.py:35:23
	v_cvt_f16_f32_e32 v43, v47
	.loc	1 39 52                         ; matmul.py:39:52
	s_wait_alu depctr_va_sdst(0)
	v_add_co_ci_u32_e64 v42, null, v56, v62, s16
	.loc	1 41 21                         ; matmul.py:41:21
	global_store_b16 v[41:42], v43, off
	s_wait_alu depctr_sa_sdst(0)
	s_or_b32 exec_lo, exec_lo, s17
	.loc	1 40 39                         ; matmul.py:40:39
	s_and_b32 s16, s15, s6
	.loc	1 41 21                         ; matmul.py:41:21
	s_wait_alu depctr_sa_sdst(0)
	s_and_saveexec_b32 s17, s16
	s_cbranch_execz .LBB0_223
.LBB0_273:
	.loc	1 39 52                         ; matmul.py:39:52
	v_add_co_u32 v41, s16, v55, v73
	.loc	1 35 23                         ; matmul.py:35:23
	v_cvt_f16_f32_e32 v43, v48
	.loc	1 39 52                         ; matmul.py:39:52
	s_wait_alu depctr_va_sdst(0)
	v_add_co_ci_u32_e64 v42, null, v56, v74, s16
	.loc	1 41 21                         ; matmul.py:41:21
	global_store_b16 v[41:42], v43, off
	s_wait_alu depctr_sa_sdst(0)
	s_or_b32 exec_lo, exec_lo, s17
	.loc	1 40 39                         ; matmul.py:40:39
	s_and_b32 s16, s15, s7
	.loc	1 41 21                         ; matmul.py:41:21
	s_wait_alu depctr_sa_sdst(0)
	s_and_saveexec_b32 s17, s16
	s_cbranch_execz .LBB0_224
.LBB0_274:
	.loc	1 39 52                         ; matmul.py:39:52
	v_add_co_u32 v41, s16, v55, v63
	.loc	1 35 23                         ; matmul.py:35:23
	v_cvt_f16_f32_e32 v33, v33
	.loc	1 39 52                         ; matmul.py:39:52
	s_wait_alu depctr_va_sdst(0)
	v_add_co_ci_u32_e64 v42, null, v56, v64, s16
	.loc	1 41 21                         ; matmul.py:41:21
	global_store_b16 v[41:42], v33, off
	s_wait_alu depctr_sa_sdst(0)
	s_or_b32 exec_lo, exec_lo, s17
	.loc	1 40 39                         ; matmul.py:40:39
	s_and_b32 s16, s15, s8
	.loc	1 41 21                         ; matmul.py:41:21
	s_wait_alu depctr_sa_sdst(0)
	s_and_saveexec_b32 s17, s16
	s_cbranch_execz .LBB0_225
.LBB0_275:
	.loc	1 39 52                         ; matmul.py:39:52
	v_add_co_u32 v33, s16, v55, v75
	.loc	1 35 23                         ; matmul.py:35:23
	v_cvt_f16_f32_e32 v41, v34
	.loc	1 39 52                         ; matmul.py:39:52
	s_wait_alu depctr_va_sdst(0)
	v_add_co_ci_u32_e64 v34, null, v56, v76, s16
	.loc	1 41 21                         ; matmul.py:41:21
	global_store_b16 v[33:34], v41, off
	s_wait_alu depctr_sa_sdst(0)
	s_or_b32 exec_lo, exec_lo, s17
	.loc	1 40 39                         ; matmul.py:40:39
	s_and_b32 s16, s15, s9
	.loc	1 41 21                         ; matmul.py:41:21
	s_wait_alu depctr_sa_sdst(0)
	s_and_saveexec_b32 s17, s16
	s_cbranch_execz .LBB0_226
.LBB0_276:
	.loc	1 39 52                         ; matmul.py:39:52
	v_add_co_u32 v33, s16, v55, v49
	.loc	1 35 23                         ; matmul.py:35:23
	v_cvt_f16_f32_e32 v35, v35
	.loc	1 39 52                         ; matmul.py:39:52
	s_wait_alu depctr_va_sdst(0)
	v_add_co_ci_u32_e64 v34, null, v56, v50, s16
	.loc	1 41 21                         ; matmul.py:41:21
	global_store_b16 v[33:34], v35, off
	s_wait_alu depctr_sa_sdst(0)
	s_or_b32 exec_lo, exec_lo, s17
	.loc	1 40 39                         ; matmul.py:40:39
	s_and_b32 s16, s15, s10
	.loc	1 41 21                         ; matmul.py:41:21
	s_wait_alu depctr_sa_sdst(0)
	s_and_saveexec_b32 s17, s16
	s_cbranch_execz .LBB0_227
.LBB0_277:
	.loc	1 39 52                         ; matmul.py:39:52
	v_add_co_u32 v33, s16, v55, v77
	.loc	1 35 23                         ; matmul.py:35:23
	v_cvt_f16_f32_e32 v35, v36
	.loc	1 39 52                         ; matmul.py:39:52
	s_wait_alu depctr_va_sdst(0)
	v_add_co_ci_u32_e64 v34, null, v56, v78, s16
	.loc	1 41 21                         ; matmul.py:41:21
	global_store_b16 v[33:34], v35, off
	s_wait_alu depctr_sa_sdst(0)
	s_or_b32 exec_lo, exec_lo, s17
	.loc	1 40 39                         ; matmul.py:40:39
	s_and_b32 s16, s15, s11
	.loc	1 41 21                         ; matmul.py:41:21
	s_wait_alu depctr_sa_sdst(0)
	s_and_saveexec_b32 s17, s16
	s_cbranch_execz .LBB0_228
.LBB0_278:
	.loc	1 39 52                         ; matmul.py:39:52
	v_add_co_u32 v33, s16, v55, v51
	.loc	1 35 23                         ; matmul.py:35:23
	v_cvt_f16_f32_e32 v35, v37
	.loc	1 39 52                         ; matmul.py:39:52
	s_wait_alu depctr_va_sdst(0)
	v_add_co_ci_u32_e64 v34, null, v56, v52, s16
	.loc	1 41 21                         ; matmul.py:41:21
	global_store_b16 v[33:34], v35, off
	s_wait_alu depctr_sa_sdst(0)
	s_or_b32 exec_lo, exec_lo, s17
	.loc	1 40 39                         ; matmul.py:40:39
	s_and_b32 s16, s15, s12
	.loc	1 41 21                         ; matmul.py:41:21
	s_wait_alu depctr_sa_sdst(0)
	s_and_saveexec_b32 s17, s16
	s_cbranch_execz .LBB0_229
.LBB0_279:
	.loc	1 39 52                         ; matmul.py:39:52
	v_add_co_u32 v33, s16, v55, v79
	.loc	1 35 23                         ; matmul.py:35:23
	v_cvt_f16_f32_e32 v35, v38
	.loc	1 39 52                         ; matmul.py:39:52
	s_wait_alu depctr_va_sdst(0)
	v_add_co_ci_u32_e64 v34, null, v56, v80, s16
	.loc	1 41 21                         ; matmul.py:41:21
	global_store_b16 v[33:34], v35, off
	s_wait_alu depctr_sa_sdst(0)
	s_or_b32 exec_lo, exec_lo, s17
	.loc	1 40 39                         ; matmul.py:40:39
	s_and_b32 s16, s15, s13
	.loc	1 41 21                         ; matmul.py:41:21
	s_wait_alu depctr_sa_sdst(0)
	s_and_saveexec_b32 s17, s16
	s_cbranch_execz .LBB0_230
.LBB0_280:
	.loc	1 39 52                         ; matmul.py:39:52
	v_add_co_u32 v33, s16, v55, v53
	.loc	1 35 23                         ; matmul.py:35:23
	v_cvt_f16_f32_e32 v35, v39
	.loc	1 39 52                         ; matmul.py:39:52
	s_wait_alu depctr_va_sdst(0)
	v_add_co_ci_u32_e64 v34, null, v56, v54, s16
	.loc	1 41 21                         ; matmul.py:41:21
	global_store_b16 v[33:34], v35, off
	s_wait_alu depctr_sa_sdst(0)
	s_or_b32 exec_lo, exec_lo, s17
	.loc	1 40 39                         ; matmul.py:40:39
	s_and_b32 s15, s15, s14
	.loc	1 41 21                         ; matmul.py:41:21
	s_wait_alu depctr_sa_sdst(0)
	s_and_saveexec_b32 s16, s15
	s_cbranch_execnz .LBB0_231
	s_branch .LBB0_232
.LBB0_281:
	.loc	1 39 52                         ; matmul.py:39:52
	v_add_co_u32 v35, s16, v33, v65
	.loc	1 35 23                         ; matmul.py:35:23
	v_cvt_f16_f32_e32 v25, v25
	.loc	1 39 52                         ; matmul.py:39:52
	s_wait_alu depctr_va_sdst(0)
	v_add_co_ci_u32_e64 v36, null, v34, v66, s16
	.loc	1 41 21                         ; matmul.py:41:21
	global_store_b16 v[35:36], v25, off
	s_wait_alu depctr_sa_sdst(0)
	s_or_b32 exec_lo, exec_lo, s17
	.loc	1 40 39                         ; matmul.py:40:39
	s_and_b32 s16, s15, s0
	.loc	1 41 21                         ; matmul.py:41:21
	s_wait_alu depctr_sa_sdst(0)
	s_and_saveexec_b32 s17, s16
	s_cbranch_execz .LBB0_234
.LBB0_282:
	.loc	1 39 52                         ; matmul.py:39:52
	v_add_co_u32 v25, s16, v33, v67
	.loc	1 35 23                         ; matmul.py:35:23
	v_cvt_f16_f32_e32 v35, v26
	.loc	1 39 52                         ; matmul.py:39:52
	s_wait_alu depctr_va_sdst(0)
	v_add_co_ci_u32_e64 v26, null, v34, v68, s16
	.loc	1 41 21                         ; matmul.py:41:21
	global_store_b16 v[25:26], v35, off
	s_wait_alu depctr_sa_sdst(0)
	s_or_b32 exec_lo, exec_lo, s17
	.loc	1 40 39                         ; matmul.py:40:39
	s_and_b32 s16, s15, s1
	.loc	1 41 21                         ; matmul.py:41:21
	s_wait_alu depctr_sa_sdst(0)
	s_and_saveexec_b32 s17, s16
	s_cbranch_execz .LBB0_235
.LBB0_283:
	.loc	1 39 52                         ; matmul.py:39:52
	v_add_co_u32 v25, s16, v33, v57
	.loc	1 35 23                         ; matmul.py:35:23
	v_cvt_f16_f32_e32 v27, v27
	.loc	1 39 52                         ; matmul.py:39:52
	s_wait_alu depctr_va_sdst(0)
	v_add_co_ci_u32_e64 v26, null, v34, v58, s16
	.loc	1 41 21                         ; matmul.py:41:21
	global_store_b16 v[25:26], v27, off
	s_wait_alu depctr_sa_sdst(0)
	s_or_b32 exec_lo, exec_lo, s17
	.loc	1 40 39                         ; matmul.py:40:39
	s_and_b32 s16, s15, s2
	.loc	1 41 21                         ; matmul.py:41:21
	s_wait_alu depctr_sa_sdst(0)
	s_and_saveexec_b32 s17, s16
	s_cbranch_execz .LBB0_236
.LBB0_284:
	.loc	1 39 52                         ; matmul.py:39:52
	v_add_co_u32 v25, s16, v33, v69
	.loc	1 35 23                         ; matmul.py:35:23
	v_cvt_f16_f32_e32 v27, v28
	.loc	1 39 52                         ; matmul.py:39:52
	s_wait_alu depctr_va_sdst(0)
	v_add_co_ci_u32_e64 v26, null, v34, v70, s16
	.loc	1 41 21                         ; matmul.py:41:21
	global_store_b16 v[25:26], v27, off
	s_wait_alu depctr_sa_sdst(0)
	s_or_b32 exec_lo, exec_lo, s17
	.loc	1 40 39                         ; matmul.py:40:39
	s_and_b32 s16, s15, s3
	.loc	1 41 21                         ; matmul.py:41:21
	s_wait_alu depctr_sa_sdst(0)
	s_and_saveexec_b32 s17, s16
	s_cbranch_execz .LBB0_237
.LBB0_285:
	.loc	1 39 52                         ; matmul.py:39:52
	v_add_co_u32 v25, s16, v33, v59
	.loc	1 35 23                         ; matmul.py:35:23
	v_cvt_f16_f32_e32 v27, v29
	.loc	1 39 52                         ; matmul.py:39:52
	s_wait_alu depctr_va_sdst(0)
	v_add_co_ci_u32_e64 v26, null, v34, v60, s16
	.loc	1 41 21                         ; matmul.py:41:21
	global_store_b16 v[25:26], v27, off
	s_wait_alu depctr_sa_sdst(0)
	s_or_b32 exec_lo, exec_lo, s17
	.loc	1 40 39                         ; matmul.py:40:39
	s_and_b32 s16, s15, s4
	.loc	1 41 21                         ; matmul.py:41:21
	s_wait_alu depctr_sa_sdst(0)
	s_and_saveexec_b32 s17, s16
	s_cbranch_execz .LBB0_238
.LBB0_286:
	.loc	1 39 52                         ; matmul.py:39:52
	v_add_co_u32 v25, s16, v33, v71
	.loc	1 35 23                         ; matmul.py:35:23
	v_cvt_f16_f32_e32 v27, v30
	.loc	1 39 52                         ; matmul.py:39:52
	s_wait_alu depctr_va_sdst(0)
	v_add_co_ci_u32_e64 v26, null, v34, v72, s16
	.loc	1 41 21                         ; matmul.py:41:21
	global_store_b16 v[25:26], v27, off
	s_wait_alu depctr_sa_sdst(0)
	s_or_b32 exec_lo, exec_lo, s17
	.loc	1 40 39                         ; matmul.py:40:39
	s_and_b32 s16, s15, s5
	.loc	1 41 21                         ; matmul.py:41:21
	s_wait_alu depctr_sa_sdst(0)
	s_and_saveexec_b32 s17, s16
	s_cbranch_execz .LBB0_239
.LBB0_287:
	.loc	1 39 52                         ; matmul.py:39:52
	v_add_co_u32 v25, s16, v33, v61
	.loc	1 35 23                         ; matmul.py:35:23
	v_cvt_f16_f32_e32 v27, v31
	.loc	1 39 52                         ; matmul.py:39:52
	s_wait_alu depctr_va_sdst(0)
	v_add_co_ci_u32_e64 v26, null, v34, v62, s16
	.loc	1 41 21                         ; matmul.py:41:21
	global_store_b16 v[25:26], v27, off
	s_wait_alu depctr_sa_sdst(0)
	s_or_b32 exec_lo, exec_lo, s17
	.loc	1 40 39                         ; matmul.py:40:39
	s_and_b32 s16, s15, s6
	.loc	1 41 21                         ; matmul.py:41:21
	s_wait_alu depctr_sa_sdst(0)
	s_and_saveexec_b32 s17, s16
	s_cbranch_execz .LBB0_240
.LBB0_288:
	.loc	1 39 52                         ; matmul.py:39:52
	v_add_co_u32 v25, s16, v33, v73
	.loc	1 35 23                         ; matmul.py:35:23
	v_cvt_f16_f32_e32 v27, v32
	.loc	1 39 52                         ; matmul.py:39:52
	s_wait_alu depctr_va_sdst(0)
	v_add_co_ci_u32_e64 v26, null, v34, v74, s16
	.loc	1 41 21                         ; matmul.py:41:21
	global_store_b16 v[25:26], v27, off
	s_wait_alu depctr_sa_sdst(0)
	s_or_b32 exec_lo, exec_lo, s17
	.loc	1 40 39                         ; matmul.py:40:39
	s_and_b32 s16, s15, s7
	.loc	1 41 21                         ; matmul.py:41:21
	s_wait_alu depctr_sa_sdst(0)
	s_and_saveexec_b32 s17, s16
	s_cbranch_execz .LBB0_241
.LBB0_289:
	.loc	1 39 52                         ; matmul.py:39:52
	v_add_co_u32 v25, s16, v33, v63
	.loc	1 35 23                         ; matmul.py:35:23
	v_cvt_f16_f32_e32 v17, v17
	.loc	1 39 52                         ; matmul.py:39:52
	s_wait_alu depctr_va_sdst(0)
	v_add_co_ci_u32_e64 v26, null, v34, v64, s16
	.loc	1 41 21                         ; matmul.py:41:21
	global_store_b16 v[25:26], v17, off
	s_wait_alu depctr_sa_sdst(0)
	s_or_b32 exec_lo, exec_lo, s17
	.loc	1 40 39                         ; matmul.py:40:39
	s_and_b32 s16, s15, s8
	.loc	1 41 21                         ; matmul.py:41:21
	s_wait_alu depctr_sa_sdst(0)
	s_and_saveexec_b32 s17, s16
	s_cbranch_execz .LBB0_242
.LBB0_290:
	.loc	1 39 52                         ; matmul.py:39:52
	v_add_co_u32 v17, s16, v33, v75
	.loc	1 35 23                         ; matmul.py:35:23
	v_cvt_f16_f32_e32 v25, v18
	.loc	1 39 52                         ; matmul.py:39:52
	s_wait_alu depctr_va_sdst(0)
	v_add_co_ci_u32_e64 v18, null, v34, v76, s16
	.loc	1 41 21                         ; matmul.py:41:21
	global_store_b16 v[17:18], v25, off
	s_wait_alu depctr_sa_sdst(0)
	s_or_b32 exec_lo, exec_lo, s17
	.loc	1 40 39                         ; matmul.py:40:39
	s_and_b32 s16, s15, s9
	.loc	1 41 21                         ; matmul.py:41:21
	s_wait_alu depctr_sa_sdst(0)
	s_and_saveexec_b32 s17, s16
	s_cbranch_execz .LBB0_243
.LBB0_291:
	.loc	1 39 52                         ; matmul.py:39:52
	v_add_co_u32 v17, s16, v33, v49
	.loc	1 35 23                         ; matmul.py:35:23
	v_cvt_f16_f32_e32 v19, v19
	.loc	1 39 52                         ; matmul.py:39:52
	s_wait_alu depctr_va_sdst(0)
	v_add_co_ci_u32_e64 v18, null, v34, v50, s16
	.loc	1 41 21                         ; matmul.py:41:21
	global_store_b16 v[17:18], v19, off
	s_wait_alu depctr_sa_sdst(0)
	s_or_b32 exec_lo, exec_lo, s17
	.loc	1 40 39                         ; matmul.py:40:39
	s_and_b32 s16, s15, s10
	.loc	1 41 21                         ; matmul.py:41:21
	s_wait_alu depctr_sa_sdst(0)
	s_and_saveexec_b32 s17, s16
	s_cbranch_execz .LBB0_244
.LBB0_292:
	.loc	1 39 52                         ; matmul.py:39:52
	v_add_co_u32 v17, s16, v33, v77
	.loc	1 35 23                         ; matmul.py:35:23
	v_cvt_f16_f32_e32 v19, v20
	.loc	1 39 52                         ; matmul.py:39:52
	s_wait_alu depctr_va_sdst(0)
	v_add_co_ci_u32_e64 v18, null, v34, v78, s16
	.loc	1 41 21                         ; matmul.py:41:21
	global_store_b16 v[17:18], v19, off
	s_wait_alu depctr_sa_sdst(0)
	s_or_b32 exec_lo, exec_lo, s17
	.loc	1 40 39                         ; matmul.py:40:39
	s_and_b32 s16, s15, s11
	.loc	1 41 21                         ; matmul.py:41:21
	s_wait_alu depctr_sa_sdst(0)
	s_and_saveexec_b32 s17, s16
	s_cbranch_execz .LBB0_245
.LBB0_293:
	.loc	1 39 52                         ; matmul.py:39:52
	v_add_co_u32 v17, s16, v33, v51
	.loc	1 35 23                         ; matmul.py:35:23
	v_cvt_f16_f32_e32 v19, v21
	.loc	1 39 52                         ; matmul.py:39:52
	s_wait_alu depctr_va_sdst(0)
	v_add_co_ci_u32_e64 v18, null, v34, v52, s16
	.loc	1 41 21                         ; matmul.py:41:21
	global_store_b16 v[17:18], v19, off
	s_wait_alu depctr_sa_sdst(0)
	s_or_b32 exec_lo, exec_lo, s17
	.loc	1 40 39                         ; matmul.py:40:39
	s_and_b32 s16, s15, s12
	.loc	1 41 21                         ; matmul.py:41:21
	s_wait_alu depctr_sa_sdst(0)
	s_and_saveexec_b32 s17, s16
	s_cbranch_execz .LBB0_246
.LBB0_294:
	.loc	1 39 52                         ; matmul.py:39:52
	v_add_co_u32 v17, s16, v33, v79
	.loc	1 35 23                         ; matmul.py:35:23
	v_cvt_f16_f32_e32 v19, v22
	.loc	1 39 52                         ; matmul.py:39:52
	s_wait_alu depctr_va_sdst(0)
	v_add_co_ci_u32_e64 v18, null, v34, v80, s16
	.loc	1 41 21                         ; matmul.py:41:21
	global_store_b16 v[17:18], v19, off
	s_wait_alu depctr_sa_sdst(0)
	s_or_b32 exec_lo, exec_lo, s17
	.loc	1 40 39                         ; matmul.py:40:39
	s_and_b32 s16, s15, s13
	.loc	1 41 21                         ; matmul.py:41:21
	s_wait_alu depctr_sa_sdst(0)
	s_and_saveexec_b32 s17, s16
	s_cbranch_execz .LBB0_247
.LBB0_295:
	.loc	1 39 52                         ; matmul.py:39:52
	v_add_co_u32 v17, s16, v33, v53
	.loc	1 35 23                         ; matmul.py:35:23
	v_cvt_f16_f32_e32 v19, v23
	.loc	1 39 52                         ; matmul.py:39:52
	s_wait_alu depctr_va_sdst(0)
	v_add_co_ci_u32_e64 v18, null, v34, v54, s16
	.loc	1 41 21                         ; matmul.py:41:21
	global_store_b16 v[17:18], v19, off
	s_wait_alu depctr_sa_sdst(0)
	s_or_b32 exec_lo, exec_lo, s17
	.loc	1 40 39                         ; matmul.py:40:39
	s_and_b32 s15, s15, s14
	.loc	1 41 21                         ; matmul.py:41:21
	s_wait_alu depctr_sa_sdst(0)
	s_and_saveexec_b32 s16, s15
	s_cbranch_execnz .LBB0_248
	s_branch .LBB0_249
.LBB0_296:
	.loc	1 39 52                         ; matmul.py:39:52
	v_add_co_u32 v18, vcc_lo, v0, v65
	.loc	1 35 23                         ; matmul.py:35:23
	v_cvt_f16_f32_e32 v9, v9
	.loc	1 39 52                         ; matmul.py:39:52
	s_wait_alu depctr_va_vcc(0)
	v_add_co_ci_u32_e64 v19, null, v17, v66, vcc_lo
	.loc	1 41 21                         ; matmul.py:41:21
	global_store_b16 v[18:19], v9, off
	s_wait_alu depctr_sa_sdst(0)
	s_or_b32 exec_lo, exec_lo, s16
	.loc	1 40 39                         ; matmul.py:40:39
	s_and_b32 s16, s15, s0
	.loc	1 41 21                         ; matmul.py:41:21
	s_wait_alu depctr_sa_sdst(0)
	s_and_saveexec_b32 s0, s16
	s_cbranch_execz .LBB0_251
.LBB0_297:
	.loc	1 39 52                         ; matmul.py:39:52
	v_add_co_u32 v9, vcc_lo, v0, v67
	.loc	1 35 23                         ; matmul.py:35:23
	v_cvt_f16_f32_e32 v18, v10
	.loc	1 39 52                         ; matmul.py:39:52
	s_wait_alu depctr_va_vcc(0)
	v_add_co_ci_u32_e64 v10, null, v17, v68, vcc_lo
	.loc	1 41 21                         ; matmul.py:41:21
	global_store_b16 v[9:10], v18, off
	s_wait_alu depctr_sa_sdst(0)
	s_or_b32 exec_lo, exec_lo, s0
	.loc	1 40 39                         ; matmul.py:40:39
	s_and_b32 s1, s15, s1
	.loc	1 41 21                         ; matmul.py:41:21
	s_wait_alu depctr_sa_sdst(0)
	s_and_saveexec_b32 s0, s1
	s_cbranch_execz .LBB0_252
.LBB0_298:
	.loc	1 39 52                         ; matmul.py:39:52
	v_add_co_u32 v9, vcc_lo, v0, v57
	.loc	1 35 23                         ; matmul.py:35:23
	v_cvt_f16_f32_e32 v11, v11
	.loc	1 39 52                         ; matmul.py:39:52
	s_wait_alu depctr_va_vcc(0)
	v_add_co_ci_u32_e64 v10, null, v17, v58, vcc_lo
	.loc	1 41 21                         ; matmul.py:41:21
	global_store_b16 v[9:10], v11, off
	s_wait_alu depctr_sa_sdst(0)
	s_or_b32 exec_lo, exec_lo, s0
	.loc	1 40 39                         ; matmul.py:40:39
	s_and_b32 s1, s15, s2
	.loc	1 41 21                         ; matmul.py:41:21
	s_wait_alu depctr_sa_sdst(0)
	s_and_saveexec_b32 s0, s1
	s_cbranch_execz .LBB0_253
.LBB0_299:
	.loc	1 39 52                         ; matmul.py:39:52
	v_add_co_u32 v9, vcc_lo, v0, v69
	.loc	1 35 23                         ; matmul.py:35:23
	v_cvt_f16_f32_e32 v11, v12
	.loc	1 39 52                         ; matmul.py:39:52
	s_wait_alu depctr_va_vcc(0)
	v_add_co_ci_u32_e64 v10, null, v17, v70, vcc_lo
	.loc	1 41 21                         ; matmul.py:41:21
	global_store_b16 v[9:10], v11, off
	s_wait_alu depctr_sa_sdst(0)
	s_or_b32 exec_lo, exec_lo, s0
	.loc	1 40 39                         ; matmul.py:40:39
	s_and_b32 s1, s15, s3
	.loc	1 41 21                         ; matmul.py:41:21
	s_wait_alu depctr_sa_sdst(0)
	s_and_saveexec_b32 s0, s1
	s_cbranch_execz .LBB0_254
.LBB0_300:
	.loc	1 39 52                         ; matmul.py:39:52
	v_add_co_u32 v9, vcc_lo, v0, v59
	.loc	1 35 23                         ; matmul.py:35:23
	v_cvt_f16_f32_e32 v11, v13
	.loc	1 39 52                         ; matmul.py:39:52
	s_wait_alu depctr_va_vcc(0)
	v_add_co_ci_u32_e64 v10, null, v17, v60, vcc_lo
	.loc	1 41 21                         ; matmul.py:41:21
	global_store_b16 v[9:10], v11, off
	s_wait_alu depctr_sa_sdst(0)
	s_or_b32 exec_lo, exec_lo, s0
	.loc	1 40 39                         ; matmul.py:40:39
	s_and_b32 s1, s15, s4
	.loc	1 41 21                         ; matmul.py:41:21
	s_wait_alu depctr_sa_sdst(0)
	s_and_saveexec_b32 s0, s1
	s_cbranch_execz .LBB0_255
.LBB0_301:
	.loc	1 39 52                         ; matmul.py:39:52
	v_add_co_u32 v9, vcc_lo, v0, v71
	.loc	1 35 23                         ; matmul.py:35:23
	v_cvt_f16_f32_e32 v11, v14
	.loc	1 39 52                         ; matmul.py:39:52
	s_wait_alu depctr_va_vcc(0)
	v_add_co_ci_u32_e64 v10, null, v17, v72, vcc_lo
	.loc	1 41 21                         ; matmul.py:41:21
	global_store_b16 v[9:10], v11, off
	s_wait_alu depctr_sa_sdst(0)
	s_or_b32 exec_lo, exec_lo, s0
	.loc	1 40 39                         ; matmul.py:40:39
	s_and_b32 s1, s15, s5
	.loc	1 41 21                         ; matmul.py:41:21
	s_wait_alu depctr_sa_sdst(0)
	s_and_saveexec_b32 s0, s1
	s_cbranch_execz .LBB0_256
.LBB0_302:
	.loc	1 39 52                         ; matmul.py:39:52
	v_add_co_u32 v9, vcc_lo, v0, v61
	.loc	1 35 23                         ; matmul.py:35:23
	v_cvt_f16_f32_e32 v11, v15
	.loc	1 39 52                         ; matmul.py:39:52
	s_wait_alu depctr_va_vcc(0)
	v_add_co_ci_u32_e64 v10, null, v17, v62, vcc_lo
	.loc	1 41 21                         ; matmul.py:41:21
	global_store_b16 v[9:10], v11, off
	s_wait_alu depctr_sa_sdst(0)
	s_or_b32 exec_lo, exec_lo, s0
	.loc	1 40 39                         ; matmul.py:40:39
	s_and_b32 s1, s15, s6
	.loc	1 41 21                         ; matmul.py:41:21
	s_wait_alu depctr_sa_sdst(0)
	s_and_saveexec_b32 s0, s1
	s_cbranch_execz .LBB0_257
.LBB0_303:
	.loc	1 39 52                         ; matmul.py:39:52
	v_add_co_u32 v9, vcc_lo, v0, v73
	.loc	1 35 23                         ; matmul.py:35:23
	v_cvt_f16_f32_e32 v11, v16
	.loc	1 39 52                         ; matmul.py:39:52
	s_wait_alu depctr_va_vcc(0)
	v_add_co_ci_u32_e64 v10, null, v17, v74, vcc_lo
	.loc	1 41 21                         ; matmul.py:41:21
	global_store_b16 v[9:10], v11, off
	s_wait_alu depctr_sa_sdst(0)
	s_or_b32 exec_lo, exec_lo, s0
	.loc	1 40 39                         ; matmul.py:40:39
	s_and_b32 s1, s15, s7
	.loc	1 41 21                         ; matmul.py:41:21
	s_wait_alu depctr_sa_sdst(0)
	s_and_saveexec_b32 s0, s1
	s_cbranch_execz .LBB0_258
.LBB0_304:
	.loc	1 39 52                         ; matmul.py:39:52
	v_add_co_u32 v9, vcc_lo, v0, v63
	.loc	1 35 23                         ; matmul.py:35:23
	v_cvt_f16_f32_e32 v1, v1
	.loc	1 39 52                         ; matmul.py:39:52
	s_wait_alu depctr_va_vcc(0)
	v_add_co_ci_u32_e64 v10, null, v17, v64, vcc_lo
	.loc	1 41 21                         ; matmul.py:41:21
	global_store_b16 v[9:10], v1, off
	s_wait_alu depctr_sa_sdst(0)
	s_or_b32 exec_lo, exec_lo, s0
	.loc	1 40 39                         ; matmul.py:40:39
	s_and_b32 s1, s15, s8
	.loc	1 41 21                         ; matmul.py:41:21
	s_wait_alu depctr_sa_sdst(0)
	s_and_saveexec_b32 s0, s1
	s_cbranch_execz .LBB0_259
.LBB0_305:
	.loc	1 39 52                         ; matmul.py:39:52
	v_add_co_u32 v1, vcc_lo, v0, v75
	.loc	1 35 23                         ; matmul.py:35:23
	v_cvt_f16_f32_e32 v9, v2
	.loc	1 39 52                         ; matmul.py:39:52
	s_wait_alu depctr_va_vcc(0)
	v_add_co_ci_u32_e64 v2, null, v17, v76, vcc_lo
	.loc	1 41 21                         ; matmul.py:41:21
	global_store_b16 v[1:2], v9, off
	s_wait_alu depctr_sa_sdst(0)
	s_or_b32 exec_lo, exec_lo, s0
	.loc	1 40 39                         ; matmul.py:40:39
	s_and_b32 s1, s15, s9
	.loc	1 41 21                         ; matmul.py:41:21
	s_wait_alu depctr_sa_sdst(0)
	s_and_saveexec_b32 s0, s1
	s_cbranch_execz .LBB0_260
.LBB0_306:
	.loc	1 39 52                         ; matmul.py:39:52
	v_add_co_u32 v1, vcc_lo, v0, v49
	.loc	1 35 23                         ; matmul.py:35:23
	v_cvt_f16_f32_e32 v3, v3
	.loc	1 39 52                         ; matmul.py:39:52
	s_wait_alu depctr_va_vcc(0)
	v_add_co_ci_u32_e64 v2, null, v17, v50, vcc_lo
	.loc	1 41 21                         ; matmul.py:41:21
	global_store_b16 v[1:2], v3, off
	s_wait_alu depctr_sa_sdst(0)
	s_or_b32 exec_lo, exec_lo, s0
	.loc	1 40 39                         ; matmul.py:40:39
	s_and_b32 s1, s15, s10
	.loc	1 41 21                         ; matmul.py:41:21
	s_wait_alu depctr_sa_sdst(0)
	s_and_saveexec_b32 s0, s1
	s_cbranch_execz .LBB0_261
.LBB0_307:
	.loc	1 39 52                         ; matmul.py:39:52
	v_add_co_u32 v1, vcc_lo, v0, v77
	.loc	1 35 23                         ; matmul.py:35:23
	v_cvt_f16_f32_e32 v3, v4
	.loc	1 39 52                         ; matmul.py:39:52
	s_wait_alu depctr_va_vcc(0)
	v_add_co_ci_u32_e64 v2, null, v17, v78, vcc_lo
	.loc	1 41 21                         ; matmul.py:41:21
	global_store_b16 v[1:2], v3, off
	s_wait_alu depctr_sa_sdst(0)
	s_or_b32 exec_lo, exec_lo, s0
	.loc	1 40 39                         ; matmul.py:40:39
	s_and_b32 s1, s15, s11
	.loc	1 41 21                         ; matmul.py:41:21
	s_wait_alu depctr_sa_sdst(0)
	s_and_saveexec_b32 s0, s1
	s_cbranch_execz .LBB0_262
.LBB0_308:
	.loc	1 39 52                         ; matmul.py:39:52
	v_add_co_u32 v1, vcc_lo, v0, v51
	.loc	1 35 23                         ; matmul.py:35:23
	v_cvt_f16_f32_e32 v3, v5
	.loc	1 39 52                         ; matmul.py:39:52
	s_wait_alu depctr_va_vcc(0)
	v_add_co_ci_u32_e64 v2, null, v17, v52, vcc_lo
	.loc	1 41 21                         ; matmul.py:41:21
	global_store_b16 v[1:2], v3, off
	s_wait_alu depctr_sa_sdst(0)
	s_or_b32 exec_lo, exec_lo, s0
	.loc	1 40 39                         ; matmul.py:40:39
	s_and_b32 s1, s15, s12
	.loc	1 41 21                         ; matmul.py:41:21
	s_wait_alu depctr_sa_sdst(0)
	s_and_saveexec_b32 s0, s1
	s_cbranch_execz .LBB0_263
.LBB0_309:
	.loc	1 39 52                         ; matmul.py:39:52
	v_add_co_u32 v1, vcc_lo, v0, v79
	.loc	1 35 23                         ; matmul.py:35:23
	v_cvt_f16_f32_e32 v3, v6
	.loc	1 39 52                         ; matmul.py:39:52
	s_wait_alu depctr_va_vcc(0)
	v_add_co_ci_u32_e64 v2, null, v17, v80, vcc_lo
	.loc	1 41 21                         ; matmul.py:41:21
	global_store_b16 v[1:2], v3, off
	s_wait_alu depctr_sa_sdst(0)
	s_or_b32 exec_lo, exec_lo, s0
	.loc	1 40 39                         ; matmul.py:40:39
	s_and_b32 s1, s15, s13
	.loc	1 41 21                         ; matmul.py:41:21
	s_wait_alu depctr_sa_sdst(0)
	s_and_saveexec_b32 s0, s1
	s_cbranch_execz .LBB0_264
.LBB0_310:
	.loc	1 39 52                         ; matmul.py:39:52
	v_add_co_u32 v1, vcc_lo, v0, v53
	.loc	1 35 23                         ; matmul.py:35:23
	v_cvt_f16_f32_e32 v3, v7
	.loc	1 39 52                         ; matmul.py:39:52
	s_wait_alu depctr_va_vcc(0)
	v_add_co_ci_u32_e64 v2, null, v17, v54, vcc_lo
	.loc	1 41 21                         ; matmul.py:41:21
	global_store_b16 v[1:2], v3, off
	s_wait_alu depctr_sa_sdst(0)
	s_or_b32 exec_lo, exec_lo, s0
	.loc	1 40 39                         ; matmul.py:40:39
	s_and_b32 s0, s15, s14
	.loc	1 41 21                         ; matmul.py:41:21
	s_wait_alu depctr_sa_sdst(0)
	s_and_saveexec_b32 s1, s0
	s_cbranch_execz .LBB0_265
.LBB0_311:
	.loc	1 39 52                         ; matmul.py:39:52
	v_add_co_u32 v0, vcc_lo, v0, v81
	.loc	1 35 23                         ; matmul.py:35:23
	v_cvt_f16_f32_e32 v2, v8
	.loc	1 39 52                         ; matmul.py:39:52
	s_wait_alu depctr_va_vcc(0)
	v_add_co_ci_u32_e64 v1, null, v17, v82, vcc_lo
	.loc	1 41 21                         ; matmul.py:41:21
	global_store_b16 v[0:1], v2, off
	.loc	1 41 4 is_stmt 0                ; matmul.py:41:4
	s_nop 0
	s_sendmsg sendmsg(MSG_DEALLOC_VGPRS)
	s_endpgm
.LBB0_312:
	.loc	1 34 18 is_stmt 1               ; matmul.py:34:18
	s_wait_alu depctr_sa_sdst(0)
	s_lshl_b64 s[40:41], s[2:3], 1
	s_wait_alu depctr_sa_sdst(0)
	v_add_co_u32 v10, vcc_lo, v95, s40
	s_wait_alu depctr_va_vcc(0)
	v_add_co_ci_u32_e64 v11, null, s41, v96, vcc_lo
	.loc	1 31 20                         ; matmul.py:31:20
	global_load_u16 v90, v[10:11], off
	.loc	1 31 51 is_stmt 0               ; matmul.py:31:51
	s_cmp_ge_u32 s13, s9
	.loc	1 31 20                         ; matmul.py:31:20
	s_cbranch_scc1 .LBB0_99
.LBB0_313:
	.loc	1 34 18 is_stmt 1               ; matmul.py:34:18
	s_wait_alu depctr_sa_sdst(0)
	s_lshl_b64 s[40:41], s[2:3], 1
	s_wait_alu depctr_sa_sdst(0)
	v_add_co_u32 v10, vcc_lo, v163, s40
	s_wait_alu depctr_va_vcc(0)
	v_add_co_ci_u32_e64 v11, null, s41, v164, vcc_lo
	.loc	1 31 20                         ; matmul.py:31:20
	global_load_u16 v89, v[10:11], off
	v_dual_mov_b32 v91, 0 :: v_dual_mov_b32 v92, 0
	.loc	1 31 51 is_stmt 0               ; matmul.py:31:51
	s_cmp_ge_u32 s14, s9
	.loc	1 31 20                         ; matmul.py:31:20
	s_cbranch_scc1 .LBB0_100
.LBB0_314:
	.loc	1 34 18 is_stmt 1               ; matmul.py:34:18
	s_wait_alu depctr_sa_sdst(0)
	s_lshl_b64 s[40:41], s[2:3], 1
	s_wait_alu depctr_sa_sdst(0)
	v_add_co_u32 v10, vcc_lo, v165, s40
	s_wait_alu depctr_va_vcc(0)
	v_add_co_ci_u32_e64 v11, null, s41, v166, vcc_lo
	.loc	1 31 20                         ; matmul.py:31:20
	global_load_u16 v92, v[10:11], off
	.loc	1 31 51 is_stmt 0               ; matmul.py:31:51
	s_cmp_ge_u32 s15, s9
	.loc	1 31 20                         ; matmul.py:31:20
	s_cbranch_scc1 .LBB0_101
.LBB0_315:
	.loc	1 34 18 is_stmt 1               ; matmul.py:34:18
	s_wait_alu depctr_sa_sdst(0)
	s_lshl_b64 s[40:41], s[2:3], 1
	s_wait_alu depctr_sa_sdst(0)
	v_add_co_u32 v10, vcc_lo, v167, s40
	s_wait_alu depctr_va_vcc(0)
	v_add_co_ci_u32_e64 v11, null, s41, v168, vcc_lo
	.loc	1 31 20                         ; matmul.py:31:20
	global_load_u16 v91, v[10:11], off
	v_dual_mov_b32 v93, 0 :: v_dual_mov_b32 v94, 0
	.loc	1 31 51 is_stmt 0               ; matmul.py:31:51
	s_cmp_ge_u32 s23, s9
	.loc	1 31 20                         ; matmul.py:31:20
	s_cbranch_scc1 .LBB0_102
.LBB0_316:
	.loc	1 34 18 is_stmt 1               ; matmul.py:34:18
	s_wait_alu depctr_sa_sdst(0)
	s_lshl_b64 s[40:41], s[2:3], 1
	s_wait_alu depctr_sa_sdst(0)
	v_add_co_u32 v10, vcc_lo, v169, s40
	s_wait_alu depctr_va_vcc(0)
	v_add_co_ci_u32_e64 v11, null, s41, v170, vcc_lo
	.loc	1 31 20                         ; matmul.py:31:20
	global_load_u16 v94, v[10:11], off
	.loc	1 31 51 is_stmt 0               ; matmul.py:31:51
	s_cmp_ge_u32 s27, s9
	.loc	1 31 20                         ; matmul.py:31:20
	s_cbranch_scc1 .LBB0_103
.LBB0_317:
	.loc	1 34 18 is_stmt 1               ; matmul.py:34:18
	s_wait_alu depctr_sa_sdst(0)
	s_lshl_b64 s[40:41], s[2:3], 1
	s_wait_alu depctr_sa_sdst(0)
	v_add_co_u32 v10, vcc_lo, v171, s40
	s_wait_alu depctr_va_vcc(0)
	v_add_co_ci_u32_e64 v11, null, s41, v172, vcc_lo
	.loc	1 31 20                         ; matmul.py:31:20
	global_load_u16 v93, v[10:11], off
	v_dual_mov_b32 v95, 0 :: v_dual_mov_b32 v96, 0
	.loc	1 31 51 is_stmt 0               ; matmul.py:31:51
	s_cmp_ge_u32 s28, s9
	.loc	1 31 20                         ; matmul.py:31:20
	s_cbranch_scc1 .LBB0_104
.LBB0_318:
	.loc	1 34 18 is_stmt 1               ; matmul.py:34:18
	s_wait_alu depctr_sa_sdst(0)
	s_lshl_b64 s[40:41], s[2:3], 1
	s_wait_alu depctr_sa_sdst(0)
	v_add_co_u32 v10, vcc_lo, v173, s40
	s_wait_alu depctr_va_vcc(0)
	v_add_co_ci_u32_e64 v11, null, s41, v174, vcc_lo
	.loc	1 31 20                         ; matmul.py:31:20
	global_load_u16 v96, v[10:11], off
	.loc	1 31 51 is_stmt 0               ; matmul.py:31:51
	s_cmp_ge_u32 s29, s9
	.loc	1 31 20                         ; matmul.py:31:20
	s_cbranch_scc1 .LBB0_105
.LBB0_319:
	.loc	1 34 18 is_stmt 1               ; matmul.py:34:18
	s_wait_alu depctr_sa_sdst(0)
	s_lshl_b64 s[40:41], s[2:3], 1
	s_wait_alu depctr_sa_sdst(0)
	v_add_co_u32 v10, vcc_lo, v175, s40
	s_wait_alu depctr_va_vcc(0)
	v_add_co_ci_u32_e64 v11, null, s41, v176, vcc_lo
	.loc	1 31 20                         ; matmul.py:31:20
	global_load_u16 v95, v[10:11], off
	v_dual_mov_b32 v164, 0 :: v_dual_mov_b32 v165, 0
	.loc	1 31 51 is_stmt 0               ; matmul.py:31:51
	s_cmp_ge_u32 s30, s9
	.loc	1 31 20                         ; matmul.py:31:20
	s_cbranch_scc1 .LBB0_106
.LBB0_320:
	.loc	1 34 18 is_stmt 1               ; matmul.py:34:18
	s_wait_alu depctr_sa_sdst(0)
	s_lshl_b64 s[40:41], s[2:3], 1
	s_wait_alu depctr_sa_sdst(0)
	v_add_co_u32 v10, vcc_lo, v177, s40
	s_wait_alu depctr_va_vcc(0)
	v_add_co_ci_u32_e64 v11, null, s41, v178, vcc_lo
	.loc	1 31 20                         ; matmul.py:31:20
	global_load_u16 v165, v[10:11], off
	.loc	1 31 51 is_stmt 0               ; matmul.py:31:51
	s_cmp_ge_u32 s31, s9
	.loc	1 31 20                         ; matmul.py:31:20
	s_cbranch_scc1 .LBB0_107
.LBB0_321:
	.loc	1 34 18 is_stmt 1               ; matmul.py:34:18
	s_wait_alu depctr_sa_sdst(0)
	s_lshl_b64 s[40:41], s[2:3], 1
	s_wait_alu depctr_sa_sdst(0)
	v_add_co_u32 v10, vcc_lo, v179, s40
	s_wait_alu depctr_va_vcc(0)
	v_add_co_ci_u32_e64 v11, null, s41, v180, vcc_lo
	.loc	1 31 20                         ; matmul.py:31:20
	global_load_u16 v164, v[10:11], off
	v_dual_mov_b32 v166, 0 :: v_dual_mov_b32 v167, 0
	.loc	1 31 51 is_stmt 0               ; matmul.py:31:51
	s_cmp_ge_u32 s33, s9
	.loc	1 31 20                         ; matmul.py:31:20
	s_cbranch_scc1 .LBB0_108
.LBB0_322:
	.loc	1 34 18 is_stmt 1               ; matmul.py:34:18
	s_wait_alu depctr_sa_sdst(0)
	s_lshl_b64 s[40:41], s[2:3], 1
	s_wait_alu depctr_sa_sdst(0)
	v_add_co_u32 v10, vcc_lo, v181, s40
	s_wait_alu depctr_va_vcc(0)
	v_add_co_ci_u32_e64 v11, null, s41, v182, vcc_lo
	.loc	1 31 20                         ; matmul.py:31:20
	global_load_u16 v167, v[10:11], off
	.loc	1 31 51 is_stmt 0               ; matmul.py:31:51
	s_cmp_ge_u32 s34, s9
	.loc	1 31 20                         ; matmul.py:31:20
	s_cbranch_scc1 .LBB0_109
.LBB0_323:
	.loc	1 34 18 is_stmt 1               ; matmul.py:34:18
	s_wait_alu depctr_sa_sdst(0)
	s_lshl_b64 s[40:41], s[2:3], 1
	s_wait_alu depctr_sa_sdst(0)
	v_add_co_u32 v10, vcc_lo, v183, s40
	s_wait_alu depctr_va_vcc(0)
	v_add_co_ci_u32_e64 v11, null, s41, v184, vcc_lo
	.loc	1 31 20                         ; matmul.py:31:20
	global_load_u16 v166, v[10:11], off
	v_dual_mov_b32 v168, 0 :: v_dual_mov_b32 v169, 0
	.loc	1 31 51 is_stmt 0               ; matmul.py:31:51
	s_cmp_ge_u32 s35, s9
	.loc	1 31 20                         ; matmul.py:31:20
	s_cbranch_scc1 .LBB0_110
.LBB0_324:
	.loc	1 34 18 is_stmt 1               ; matmul.py:34:18
	s_wait_alu depctr_sa_sdst(0)
	s_lshl_b64 s[40:41], s[2:3], 1
	s_wait_alu depctr_sa_sdst(0)
	v_add_co_u32 v10, vcc_lo, v185, s40
	s_wait_alu depctr_va_vcc(0)
	v_add_co_ci_u32_e64 v11, null, s41, v186, vcc_lo
	.loc	1 31 20                         ; matmul.py:31:20
	global_load_u16 v169, v[10:11], off
	.loc	1 31 51 is_stmt 0               ; matmul.py:31:51
	s_cmp_ge_u32 s36, s9
	.loc	1 31 20                         ; matmul.py:31:20
	s_cbranch_scc1 .LBB0_111
.LBB0_325:
	.loc	1 34 18 is_stmt 1               ; matmul.py:34:18
	s_wait_alu depctr_sa_sdst(0)
	s_lshl_b64 s[40:41], s[2:3], 1
	s_wait_alu depctr_sa_sdst(0)
	v_add_co_u32 v10, vcc_lo, v187, s40
	s_wait_alu depctr_va_vcc(0)
	v_add_co_ci_u32_e64 v11, null, s41, v188, vcc_lo
	.loc	1 31 20                         ; matmul.py:31:20
	global_load_u16 v168, v[10:11], off
	v_dual_mov_b32 v170, 0 :: v_dual_mov_b32 v171, 0
	.loc	1 31 51 is_stmt 0               ; matmul.py:31:51
	s_cmp_ge_u32 s37, s9
	.loc	1 31 20                         ; matmul.py:31:20
	s_cbranch_scc1 .LBB0_112
.LBB0_326:
	.loc	1 34 18 is_stmt 1               ; matmul.py:34:18
	s_wait_alu depctr_sa_sdst(0)
	s_lshl_b64 s[40:41], s[2:3], 1
	s_wait_alu depctr_sa_sdst(0)
	v_add_co_u32 v10, vcc_lo, v189, s40
	s_wait_alu depctr_va_vcc(0)
	v_add_co_ci_u32_e64 v11, null, s41, v190, vcc_lo
	.loc	1 31 20                         ; matmul.py:31:20
	global_load_u16 v171, v[10:11], off
	.loc	1 31 51 is_stmt 0               ; matmul.py:31:51
	s_cmp_ge_u32 s38, s9
	.loc	1 31 20                         ; matmul.py:31:20
	s_cbranch_scc0 .LBB0_113
	s_branch .LBB0_114
.Ltmp20:
	.section	.rodata,"a",@progbits
	.p2align	6, 0x0
	.amdhsa_kernel matmul_kernel
		.amdhsa_group_segment_fixed_size 0
		.amdhsa_private_segment_fixed_size 0
		.amdhsa_kernarg_size 80
		.amdhsa_user_sgpr_count 2
		.amdhsa_user_sgpr_dispatch_ptr 0
		.amdhsa_user_sgpr_queue_ptr 0
		.amdhsa_user_sgpr_kernarg_segment_ptr 1
		.amdhsa_user_sgpr_dispatch_id 0
		.amdhsa_user_sgpr_private_segment_size 0
		.amdhsa_wavefront_size32 1
		.amdhsa_uses_dynamic_stack 0
		.amdhsa_enable_private_segment 0
		.amdhsa_system_sgpr_workgroup_id_x 1
		.amdhsa_system_sgpr_workgroup_id_y 1
		.amdhsa_system_sgpr_workgroup_id_z 1
		.amdhsa_system_sgpr_workgroup_info 0
		.amdhsa_system_vgpr_workitem_id 0
		.amdhsa_next_free_vgpr 217
		.amdhsa_next_free_sgpr 42
		.amdhsa_reserve_vcc 1
		.amdhsa_float_round_mode_32 0
		.amdhsa_float_round_mode_16_64 0
		.amdhsa_float_denorm_mode_32 3
		.amdhsa_float_denorm_mode_16_64 3
		.amdhsa_fp16_overflow 0
		.amdhsa_workgroup_processor_mode 1
		.amdhsa_memory_ordered 1
		.amdhsa_forward_progress 1
		.amdhsa_inst_pref_size 136
		.amdhsa_round_robin_scheduling 0
		.amdhsa_exception_fp_ieee_invalid_op 0
		.amdhsa_exception_fp_denorm_src 0
		.amdhsa_exception_fp_ieee_div_zero 0
		.amdhsa_exception_fp_ieee_overflow 0
		.amdhsa_exception_fp_ieee_underflow 0
		.amdhsa_exception_fp_ieee_inexact 0
		.amdhsa_exception_int_div_zero 0
	.end_amdhsa_kernel
	.text
.Lfunc_end0:
	.size	matmul_kernel, .Lfunc_end0-matmul_kernel
	.cfi_endproc
                                        ; -- End function
	.set matmul_kernel.num_vgpr, 217
	.set matmul_kernel.num_agpr, 0
	.set matmul_kernel.numbered_sgpr, 42
	.set matmul_kernel.num_named_barrier, 0
	.set matmul_kernel.private_seg_size, 0
	.set matmul_kernel.uses_vcc, 1
	.set matmul_kernel.uses_flat_scratch, 0
	.set matmul_kernel.has_dyn_sized_stack, 0
	.set matmul_kernel.has_recursion, 0
	.set matmul_kernel.has_indirect_call, 0
	.section	.AMDGPU.csdata,"",@progbits
; Kernel info:
; codeLenInByte = 17360
; TotalNumSgprs: 44
; NumVgprs: 217
; ScratchSize: 0
; MemoryBound: 0
; FloatMode: 240
; IeeeMode: 1
; LDSByteSize: 0 bytes/workgroup (compile time only)
; SGPRBlocks: 0
; VGPRBlocks: 27
; NumSGPRsForWavesPerEU: 44
; NumVGPRsForWavesPerEU: 217
; Occupancy: 6
; WaveLimiterHint : 0
; COMPUTE_PGM_RSRC2:SCRATCH_EN: 0
; COMPUTE_PGM_RSRC2:USER_SGPR: 2
; COMPUTE_PGM_RSRC2:TRAP_HANDLER: 0
; COMPUTE_PGM_RSRC2:TGID_X_EN: 1
; COMPUTE_PGM_RSRC2:TGID_Y_EN: 1
; COMPUTE_PGM_RSRC2:TGID_Z_EN: 1
; COMPUTE_PGM_RSRC2:TIDIG_COMP_CNT: 0
	.text
	.p2alignl 7, 3214868480
	.fill 96, 4, 3214868480
	.section	.AMDGPU.gpr_maximums,"",@progbits
	.set amdgpu.max_num_vgpr, 0
	.set amdgpu.max_num_agpr, 0
	.set amdgpu.max_num_sgpr, 0
	.set amdgpu.max_num_named_barrier, 0
	.text
	.section	.debug_abbrev,"",@progbits
	.byte	1                               ; Abbreviation Code
	.byte	17                              ; DW_TAG_compile_unit
	.byte	1                               ; DW_CHILDREN_yes
	.byte	37                              ; DW_AT_producer
	.byte	14                              ; DW_FORM_strp
	.byte	19                              ; DW_AT_language
	.byte	5                               ; DW_FORM_data2
	.byte	3                               ; DW_AT_name
	.byte	14                              ; DW_FORM_strp
	.byte	16                              ; DW_AT_stmt_list
	.byte	23                              ; DW_FORM_sec_offset
	.byte	27                              ; DW_AT_comp_dir
	.byte	14                              ; DW_FORM_strp
	.byte	17                              ; DW_AT_low_pc
	.byte	1                               ; DW_FORM_addr
	.byte	18                              ; DW_AT_high_pc
	.byte	6                               ; DW_FORM_data4
	.byte	0                               ; EOM(1)
	.byte	0                               ; EOM(2)
	.byte	2                               ; Abbreviation Code
	.byte	46                              ; DW_TAG_subprogram
	.byte	0                               ; DW_CHILDREN_no
	.byte	3                               ; DW_AT_name
	.byte	14                              ; DW_FORM_strp
	.byte	32                              ; DW_AT_inline
	.byte	11                              ; DW_FORM_data1
	.byte	0                               ; EOM(1)
	.byte	0                               ; EOM(2)
	.byte	3                               ; Abbreviation Code
	.byte	46                              ; DW_TAG_subprogram
	.byte	1                               ; DW_CHILDREN_yes
	.byte	17                              ; DW_AT_low_pc
	.byte	1                               ; DW_FORM_addr
	.byte	18                              ; DW_AT_high_pc
	.byte	6                               ; DW_FORM_data4
	.byte	49                              ; DW_AT_abstract_origin
	.byte	19                              ; DW_FORM_ref4
	.byte	0                               ; EOM(1)
	.byte	0                               ; EOM(2)
	.byte	4                               ; Abbreviation Code
	.byte	29                              ; DW_TAG_inlined_subroutine
	.byte	0                               ; DW_CHILDREN_no
	.byte	49                              ; DW_AT_abstract_origin
	.byte	19                              ; DW_FORM_ref4
	.byte	85                              ; DW_AT_ranges
	.byte	23                              ; DW_FORM_sec_offset
	.byte	88                              ; DW_AT_call_file
	.byte	11                              ; DW_FORM_data1
	.byte	89                              ; DW_AT_call_line
	.byte	11                              ; DW_FORM_data1
	.byte	87                              ; DW_AT_call_column
	.byte	11                              ; DW_FORM_data1
	.byte	0                               ; EOM(1)
	.byte	0                               ; EOM(2)
	;; [unrolled: 1-line block ×3, first 2 shown]
	.section	.debug_info,"",@progbits
.Lcu_begin0:
	.long	.Ldebug_info_end0-.Ldebug_info_start0 ; Length of Unit
.Ldebug_info_start0:
	.short	4                               ; DWARF version number
	.long	.debug_abbrev                   ; Offset Into Abbrev. Section
	.byte	8                               ; Address Size (in bytes)
	.byte	1                               ; Abbrev [1] 0xb:0x5c DW_TAG_compile_unit
	.long	.Linfo_string0                  ; DW_AT_producer
	.short	2                               ; DW_AT_language
	.long	.Linfo_string1                  ; DW_AT_name
	.long	.Lline_table_start0             ; DW_AT_stmt_list
	.long	.Linfo_string2                  ; DW_AT_comp_dir
	.quad	.Lfunc_begin0                   ; DW_AT_low_pc
	.long	.Lfunc_end0-.Lfunc_begin0       ; DW_AT_high_pc
	.byte	2                               ; Abbrev [2] 0x2a:0x6 DW_TAG_subprogram
	.long	.Linfo_string3                  ; DW_AT_name
	.byte	1                               ; DW_AT_inline
	.byte	3                               ; Abbrev [3] 0x30:0x36 DW_TAG_subprogram
	.quad	.Lfunc_begin0                   ; DW_AT_low_pc
	.long	.Lfunc_end0-.Lfunc_begin0       ; DW_AT_high_pc
	.long	42                              ; DW_AT_abstract_origin
	.byte	4                               ; Abbrev [4] 0x41:0xc DW_TAG_inlined_subroutine
	.long	42                              ; DW_AT_abstract_origin
	.long	.Ldebug_ranges0                 ; DW_AT_ranges
	.byte	1                               ; DW_AT_call_file
	.byte	14                              ; DW_AT_call_line
	.byte	27                              ; DW_AT_call_column
	.byte	4                               ; Abbrev [4] 0x4d:0xc DW_TAG_inlined_subroutine
	.long	42                              ; DW_AT_abstract_origin
	.long	.Ldebug_ranges1                 ; DW_AT_ranges
	.byte	1                               ; DW_AT_call_file
	.byte	13                              ; DW_AT_call_line
	.byte	27                              ; DW_AT_call_column
	;; [unrolled: 6-line block ×3, first 2 shown]
	.byte	0                               ; End Of Children Mark
	.byte	0                               ; End Of Children Mark
.Ldebug_info_end0:
	.section	.debug_ranges,"",@progbits
.Ldebug_ranges0:
	.quad	.Ltmp1-.Lfunc_begin0
	.quad	.Ltmp2-.Lfunc_begin0
	;; [unrolled: 1-line block ×10, first 2 shown]
	.quad	0
	.quad	0
.Ldebug_ranges1:
	.quad	.Ltmp2-.Lfunc_begin0
	.quad	.Ltmp3-.Lfunc_begin0
	;; [unrolled: 1-line block ×10, first 2 shown]
	.quad	0
	.quad	0
.Ldebug_ranges2:
	.quad	.Ltmp12-.Lfunc_begin0
	.quad	.Ltmp13-.Lfunc_begin0
	;; [unrolled: 1-line block ×8, first 2 shown]
	.quad	0
	.quad	0
	.section	.debug_str,"MS",@progbits,1
.Linfo_string0:
	.asciz	"triton"                        ; string offset=0
.Linfo_string1:
	.asciz	"matmul.py"                     ; string offset=7
.Linfo_string2:
	.asciz	"/root/src/amdgpu-assembly/repos/triton-lang__triton-aot" ; string offset=17
.Linfo_string3:
	.asciz	"matmul_kernel"                 ; string offset=73
	.section	".note.GNU-stack","",@progbits
	.amdgpu_metadata
---
amdhsa.kernels:
  - .args:
      - .address_space:  global
        .offset:         0
        .size:           8
        .value_kind:     global_buffer
      - .address_space:  global
        .offset:         8
        .size:           8
        .value_kind:     global_buffer
      - .address_space:  global
        .offset:         16
        .size:           8
        .value_kind:     global_buffer
      - .offset:         24
        .size:           4
        .value_kind:     by_value
      - .offset:         28
        .size:           4
        .value_kind:     by_value
      - .offset:         32
        .size:           4
        .value_kind:     by_value
      - .offset:         36
        .size:           4
        .value_kind:     by_value
      - .offset:         40
        .size:           4
        .value_kind:     by_value
      - .offset:         44
        .size:           4
        .value_kind:     by_value
      - .offset:         48
        .size:           4
        .value_kind:     by_value
      - .offset:         52
        .size:           4
        .value_kind:     by_value
      - .offset:         56
        .size:           4
        .value_kind:     by_value
      - .address_space:  global
        .offset:         64
        .size:           8
        .value_kind:     global_buffer
      - .address_space:  global
        .offset:         72
        .size:           8
        .value_kind:     global_buffer
    .group_segment_fixed_size: 0
    .kernarg_segment_align: 8
    .kernarg_segment_size: 80
    .max_flat_workgroup_size: 256
    .name:           matmul_kernel
    .private_segment_fixed_size: 0
    .sgpr_count:     44
    .sgpr_spill_count: 0
    .symbol:         matmul_kernel.kd
    .uniform_work_group_size: 1
    .uses_dynamic_stack: false
    .vgpr_count:     217
    .vgpr_spill_count: 0
    .wavefront_size: 32
    .workgroup_processor_mode: 1
amdhsa.target:   amdgcn-amd-amdhsa--gfx1201
amdhsa.version:
  - 1
  - 2
...

	.end_amdgpu_metadata
	.section	.debug_line,"",@progbits
.Lline_table_start0:
